;; amdgpu-corpus repo=ROCm/rocFFT kind=compiled arch=gfx1100 opt=O3
	.text
	.amdgcn_target "amdgcn-amd-amdhsa--gfx1100"
	.amdhsa_code_object_version 6
	.protected	fft_rtc_back_len1400_factors_2_2_2_5_7_5_wgs_56_tpt_56_halfLds_dp_op_CI_CI_unitstride_sbrr_C2R_dirReg ; -- Begin function fft_rtc_back_len1400_factors_2_2_2_5_7_5_wgs_56_tpt_56_halfLds_dp_op_CI_CI_unitstride_sbrr_C2R_dirReg
	.globl	fft_rtc_back_len1400_factors_2_2_2_5_7_5_wgs_56_tpt_56_halfLds_dp_op_CI_CI_unitstride_sbrr_C2R_dirReg
	.p2align	8
	.type	fft_rtc_back_len1400_factors_2_2_2_5_7_5_wgs_56_tpt_56_halfLds_dp_op_CI_CI_unitstride_sbrr_C2R_dirReg,@function
fft_rtc_back_len1400_factors_2_2_2_5_7_5_wgs_56_tpt_56_halfLds_dp_op_CI_CI_unitstride_sbrr_C2R_dirReg: ; @fft_rtc_back_len1400_factors_2_2_2_5_7_5_wgs_56_tpt_56_halfLds_dp_op_CI_CI_unitstride_sbrr_C2R_dirReg
; %bb.0:
	s_clause 0x2
	s_load_b128 s[8:11], s[0:1], 0x0
	s_load_b128 s[4:7], s[0:1], 0x58
	;; [unrolled: 1-line block ×3, first 2 shown]
	v_mul_u32_u24_e32 v1, 0x493, v0
	v_mov_b32_e32 v3, 0
	s_delay_alu instid0(VALU_DEP_2) | instskip(NEXT) | instid1(VALU_DEP_1)
	v_lshrrev_b32_e32 v1, 16, v1
	v_add_nc_u32_e32 v5, s15, v1
	v_mov_b32_e32 v1, 0
	v_mov_b32_e32 v2, 0
	;; [unrolled: 1-line block ×3, first 2 shown]
	s_waitcnt lgkmcnt(0)
	v_cmp_lt_u64_e64 s2, s[10:11], 2
	s_delay_alu instid0(VALU_DEP_1)
	s_and_b32 vcc_lo, exec_lo, s2
	s_cbranch_vccnz .LBB0_8
; %bb.1:
	s_load_b64 s[2:3], s[0:1], 0x10
	v_mov_b32_e32 v1, 0
	v_mov_b32_e32 v2, 0
	s_add_u32 s12, s18, 8
	s_addc_u32 s13, s19, 0
	s_add_u32 s14, s16, 8
	s_addc_u32 s15, s17, 0
	v_dual_mov_b32 v123, v2 :: v_dual_mov_b32 v122, v1
	s_mov_b64 s[22:23], 1
	s_waitcnt lgkmcnt(0)
	s_add_u32 s20, s2, 8
	s_addc_u32 s21, s3, 0
.LBB0_2:                                ; =>This Inner Loop Header: Depth=1
	s_load_b64 s[24:25], s[20:21], 0x0
                                        ; implicit-def: $vgpr124_vgpr125
	s_mov_b32 s2, exec_lo
	s_waitcnt lgkmcnt(0)
	v_or_b32_e32 v4, s25, v6
	s_delay_alu instid0(VALU_DEP_1)
	v_cmpx_ne_u64_e32 0, v[3:4]
	s_xor_b32 s3, exec_lo, s2
	s_cbranch_execz .LBB0_4
; %bb.3:                                ;   in Loop: Header=BB0_2 Depth=1
	v_cvt_f32_u32_e32 v4, s24
	v_cvt_f32_u32_e32 v7, s25
	s_sub_u32 s2, 0, s24
	s_subb_u32 s26, 0, s25
	s_delay_alu instid0(VALU_DEP_1) | instskip(NEXT) | instid1(VALU_DEP_1)
	v_fmac_f32_e32 v4, 0x4f800000, v7
	v_rcp_f32_e32 v4, v4
	s_waitcnt_depctr 0xfff
	v_mul_f32_e32 v4, 0x5f7ffffc, v4
	s_delay_alu instid0(VALU_DEP_1) | instskip(NEXT) | instid1(VALU_DEP_1)
	v_mul_f32_e32 v7, 0x2f800000, v4
	v_trunc_f32_e32 v7, v7
	s_delay_alu instid0(VALU_DEP_1) | instskip(SKIP_1) | instid1(VALU_DEP_2)
	v_fmac_f32_e32 v4, 0xcf800000, v7
	v_cvt_u32_f32_e32 v7, v7
	v_cvt_u32_f32_e32 v4, v4
	s_delay_alu instid0(VALU_DEP_2) | instskip(NEXT) | instid1(VALU_DEP_2)
	v_mul_lo_u32 v8, s2, v7
	v_mul_hi_u32 v9, s2, v4
	v_mul_lo_u32 v10, s26, v4
	s_delay_alu instid0(VALU_DEP_2) | instskip(SKIP_1) | instid1(VALU_DEP_2)
	v_add_nc_u32_e32 v8, v9, v8
	v_mul_lo_u32 v9, s2, v4
	v_add_nc_u32_e32 v8, v8, v10
	s_delay_alu instid0(VALU_DEP_2) | instskip(NEXT) | instid1(VALU_DEP_2)
	v_mul_hi_u32 v10, v4, v9
	v_mul_lo_u32 v11, v4, v8
	v_mul_hi_u32 v12, v4, v8
	v_mul_hi_u32 v13, v7, v9
	v_mul_lo_u32 v9, v7, v9
	v_mul_hi_u32 v14, v7, v8
	v_mul_lo_u32 v8, v7, v8
	v_add_co_u32 v10, vcc_lo, v10, v11
	v_add_co_ci_u32_e32 v11, vcc_lo, 0, v12, vcc_lo
	s_delay_alu instid0(VALU_DEP_2) | instskip(NEXT) | instid1(VALU_DEP_2)
	v_add_co_u32 v9, vcc_lo, v10, v9
	v_add_co_ci_u32_e32 v9, vcc_lo, v11, v13, vcc_lo
	v_add_co_ci_u32_e32 v10, vcc_lo, 0, v14, vcc_lo
	s_delay_alu instid0(VALU_DEP_2) | instskip(NEXT) | instid1(VALU_DEP_2)
	v_add_co_u32 v8, vcc_lo, v9, v8
	v_add_co_ci_u32_e32 v9, vcc_lo, 0, v10, vcc_lo
	s_delay_alu instid0(VALU_DEP_2) | instskip(NEXT) | instid1(VALU_DEP_2)
	v_add_co_u32 v4, vcc_lo, v4, v8
	v_add_co_ci_u32_e32 v7, vcc_lo, v7, v9, vcc_lo
	s_delay_alu instid0(VALU_DEP_2) | instskip(SKIP_1) | instid1(VALU_DEP_3)
	v_mul_hi_u32 v8, s2, v4
	v_mul_lo_u32 v10, s26, v4
	v_mul_lo_u32 v9, s2, v7
	s_delay_alu instid0(VALU_DEP_1) | instskip(SKIP_1) | instid1(VALU_DEP_2)
	v_add_nc_u32_e32 v8, v8, v9
	v_mul_lo_u32 v9, s2, v4
	v_add_nc_u32_e32 v8, v8, v10
	s_delay_alu instid0(VALU_DEP_2) | instskip(NEXT) | instid1(VALU_DEP_2)
	v_mul_hi_u32 v10, v4, v9
	v_mul_lo_u32 v11, v4, v8
	v_mul_hi_u32 v12, v4, v8
	v_mul_hi_u32 v13, v7, v9
	v_mul_lo_u32 v9, v7, v9
	v_mul_hi_u32 v14, v7, v8
	v_mul_lo_u32 v8, v7, v8
	v_add_co_u32 v10, vcc_lo, v10, v11
	v_add_co_ci_u32_e32 v11, vcc_lo, 0, v12, vcc_lo
	s_delay_alu instid0(VALU_DEP_2) | instskip(NEXT) | instid1(VALU_DEP_2)
	v_add_co_u32 v9, vcc_lo, v10, v9
	v_add_co_ci_u32_e32 v9, vcc_lo, v11, v13, vcc_lo
	v_add_co_ci_u32_e32 v10, vcc_lo, 0, v14, vcc_lo
	s_delay_alu instid0(VALU_DEP_2) | instskip(NEXT) | instid1(VALU_DEP_2)
	v_add_co_u32 v8, vcc_lo, v9, v8
	v_add_co_ci_u32_e32 v9, vcc_lo, 0, v10, vcc_lo
	s_delay_alu instid0(VALU_DEP_2) | instskip(NEXT) | instid1(VALU_DEP_2)
	v_add_co_u32 v4, vcc_lo, v4, v8
	v_add_co_ci_u32_e32 v13, vcc_lo, v7, v9, vcc_lo
	s_delay_alu instid0(VALU_DEP_2) | instskip(SKIP_1) | instid1(VALU_DEP_3)
	v_mul_hi_u32 v14, v5, v4
	v_mad_u64_u32 v[9:10], null, v6, v4, 0
	v_mad_u64_u32 v[7:8], null, v5, v13, 0
	;; [unrolled: 1-line block ×3, first 2 shown]
	s_delay_alu instid0(VALU_DEP_2) | instskip(NEXT) | instid1(VALU_DEP_3)
	v_add_co_u32 v4, vcc_lo, v14, v7
	v_add_co_ci_u32_e32 v7, vcc_lo, 0, v8, vcc_lo
	s_delay_alu instid0(VALU_DEP_2) | instskip(NEXT) | instid1(VALU_DEP_2)
	v_add_co_u32 v4, vcc_lo, v4, v9
	v_add_co_ci_u32_e32 v4, vcc_lo, v7, v10, vcc_lo
	v_add_co_ci_u32_e32 v7, vcc_lo, 0, v12, vcc_lo
	s_delay_alu instid0(VALU_DEP_2) | instskip(NEXT) | instid1(VALU_DEP_2)
	v_add_co_u32 v4, vcc_lo, v4, v11
	v_add_co_ci_u32_e32 v9, vcc_lo, 0, v7, vcc_lo
	s_delay_alu instid0(VALU_DEP_2) | instskip(SKIP_1) | instid1(VALU_DEP_3)
	v_mul_lo_u32 v10, s25, v4
	v_mad_u64_u32 v[7:8], null, s24, v4, 0
	v_mul_lo_u32 v11, s24, v9
	s_delay_alu instid0(VALU_DEP_2) | instskip(NEXT) | instid1(VALU_DEP_2)
	v_sub_co_u32 v7, vcc_lo, v5, v7
	v_add3_u32 v8, v8, v11, v10
	s_delay_alu instid0(VALU_DEP_1) | instskip(NEXT) | instid1(VALU_DEP_1)
	v_sub_nc_u32_e32 v10, v6, v8
	v_subrev_co_ci_u32_e64 v10, s2, s25, v10, vcc_lo
	v_add_co_u32 v11, s2, v4, 2
	s_delay_alu instid0(VALU_DEP_1) | instskip(SKIP_3) | instid1(VALU_DEP_3)
	v_add_co_ci_u32_e64 v12, s2, 0, v9, s2
	v_sub_co_u32 v13, s2, v7, s24
	v_sub_co_ci_u32_e32 v8, vcc_lo, v6, v8, vcc_lo
	v_subrev_co_ci_u32_e64 v10, s2, 0, v10, s2
	v_cmp_le_u32_e32 vcc_lo, s24, v13
	s_delay_alu instid0(VALU_DEP_3) | instskip(SKIP_1) | instid1(VALU_DEP_4)
	v_cmp_eq_u32_e64 s2, s25, v8
	v_cndmask_b32_e64 v13, 0, -1, vcc_lo
	v_cmp_le_u32_e32 vcc_lo, s25, v10
	v_cndmask_b32_e64 v14, 0, -1, vcc_lo
	v_cmp_le_u32_e32 vcc_lo, s24, v7
	;; [unrolled: 2-line block ×3, first 2 shown]
	v_cndmask_b32_e64 v15, 0, -1, vcc_lo
	v_cmp_eq_u32_e32 vcc_lo, s25, v10
	s_delay_alu instid0(VALU_DEP_2) | instskip(SKIP_3) | instid1(VALU_DEP_3)
	v_cndmask_b32_e64 v7, v15, v7, s2
	v_cndmask_b32_e32 v10, v14, v13, vcc_lo
	v_add_co_u32 v13, vcc_lo, v4, 1
	v_add_co_ci_u32_e32 v14, vcc_lo, 0, v9, vcc_lo
	v_cmp_ne_u32_e32 vcc_lo, 0, v10
	s_delay_alu instid0(VALU_DEP_2) | instskip(NEXT) | instid1(VALU_DEP_4)
	v_cndmask_b32_e32 v8, v14, v12, vcc_lo
	v_cndmask_b32_e32 v10, v13, v11, vcc_lo
	v_cmp_ne_u32_e32 vcc_lo, 0, v7
	s_delay_alu instid0(VALU_DEP_2)
	v_dual_cndmask_b32 v125, v9, v8 :: v_dual_cndmask_b32 v124, v4, v10
.LBB0_4:                                ;   in Loop: Header=BB0_2 Depth=1
	s_and_not1_saveexec_b32 s2, s3
	s_cbranch_execz .LBB0_6
; %bb.5:                                ;   in Loop: Header=BB0_2 Depth=1
	v_cvt_f32_u32_e32 v4, s24
	s_sub_i32 s3, 0, s24
	v_mov_b32_e32 v125, v3
	s_delay_alu instid0(VALU_DEP_2) | instskip(SKIP_2) | instid1(VALU_DEP_1)
	v_rcp_iflag_f32_e32 v4, v4
	s_waitcnt_depctr 0xfff
	v_mul_f32_e32 v4, 0x4f7ffffe, v4
	v_cvt_u32_f32_e32 v4, v4
	s_delay_alu instid0(VALU_DEP_1) | instskip(NEXT) | instid1(VALU_DEP_1)
	v_mul_lo_u32 v7, s3, v4
	v_mul_hi_u32 v7, v4, v7
	s_delay_alu instid0(VALU_DEP_1) | instskip(NEXT) | instid1(VALU_DEP_1)
	v_add_nc_u32_e32 v4, v4, v7
	v_mul_hi_u32 v4, v5, v4
	s_delay_alu instid0(VALU_DEP_1) | instskip(SKIP_1) | instid1(VALU_DEP_2)
	v_mul_lo_u32 v7, v4, s24
	v_add_nc_u32_e32 v8, 1, v4
	v_sub_nc_u32_e32 v7, v5, v7
	s_delay_alu instid0(VALU_DEP_1) | instskip(SKIP_1) | instid1(VALU_DEP_2)
	v_subrev_nc_u32_e32 v9, s24, v7
	v_cmp_le_u32_e32 vcc_lo, s24, v7
	v_dual_cndmask_b32 v7, v7, v9 :: v_dual_cndmask_b32 v4, v4, v8
	s_delay_alu instid0(VALU_DEP_1) | instskip(NEXT) | instid1(VALU_DEP_2)
	v_cmp_le_u32_e32 vcc_lo, s24, v7
	v_add_nc_u32_e32 v8, 1, v4
	s_delay_alu instid0(VALU_DEP_1)
	v_cndmask_b32_e32 v124, v4, v8, vcc_lo
.LBB0_6:                                ;   in Loop: Header=BB0_2 Depth=1
	s_or_b32 exec_lo, exec_lo, s2
	s_delay_alu instid0(VALU_DEP_1) | instskip(NEXT) | instid1(VALU_DEP_2)
	v_mul_lo_u32 v4, v125, s24
	v_mul_lo_u32 v9, v124, s25
	s_load_b64 s[2:3], s[14:15], 0x0
	v_mad_u64_u32 v[7:8], null, v124, s24, 0
	s_load_b64 s[24:25], s[12:13], 0x0
	s_add_u32 s22, s22, 1
	s_addc_u32 s23, s23, 0
	s_add_u32 s12, s12, 8
	s_addc_u32 s13, s13, 0
	s_add_u32 s14, s14, 8
	s_delay_alu instid0(VALU_DEP_1) | instskip(SKIP_3) | instid1(VALU_DEP_2)
	v_add3_u32 v4, v8, v9, v4
	v_sub_co_u32 v8, vcc_lo, v5, v7
	s_addc_u32 s15, s15, 0
	s_add_u32 s20, s20, 8
	v_sub_co_ci_u32_e32 v6, vcc_lo, v6, v4, vcc_lo
	s_addc_u32 s21, s21, 0
	s_waitcnt lgkmcnt(0)
	s_delay_alu instid0(VALU_DEP_1)
	v_mul_lo_u32 v9, s2, v6
	v_mul_lo_u32 v10, s3, v8
	v_mad_u64_u32 v[4:5], null, s2, v8, v[1:2]
	v_mul_lo_u32 v11, s24, v6
	v_mul_lo_u32 v12, s25, v8
	v_mad_u64_u32 v[6:7], null, s24, v8, v[122:123]
	v_cmp_ge_u64_e64 s2, s[22:23], s[10:11]
	v_add3_u32 v2, v10, v5, v9
	s_delay_alu instid0(VALU_DEP_3) | instskip(NEXT) | instid1(VALU_DEP_4)
	v_dual_mov_b32 v1, v4 :: v_dual_mov_b32 v122, v6
	v_add3_u32 v123, v12, v7, v11
	s_delay_alu instid0(VALU_DEP_4)
	s_and_b32 vcc_lo, exec_lo, s2
	s_cbranch_vccnz .LBB0_9
; %bb.7:                                ;   in Loop: Header=BB0_2 Depth=1
	v_dual_mov_b32 v5, v124 :: v_dual_mov_b32 v6, v125
	s_branch .LBB0_2
.LBB0_8:
	v_dual_mov_b32 v123, v2 :: v_dual_mov_b32 v122, v1
	v_dual_mov_b32 v125, v6 :: v_dual_mov_b32 v124, v5
.LBB0_9:
	s_load_b64 s[0:1], s[0:1], 0x28
	v_mul_hi_u32 v3, 0x4924925, v0
	s_lshl_b64 s[10:11], s[10:11], 3
                                        ; implicit-def: $vgpr120
	s_delay_alu instid0(SALU_CYCLE_1) | instskip(SKIP_4) | instid1(VALU_DEP_1)
	s_add_u32 s2, s18, s10
	s_addc_u32 s3, s19, s11
	s_waitcnt lgkmcnt(0)
	v_cmp_gt_u64_e32 vcc_lo, s[0:1], v[124:125]
	v_cmp_le_u64_e64 s0, s[0:1], v[124:125]
	s_and_saveexec_b32 s1, s0
	s_delay_alu instid0(SALU_CYCLE_1)
	s_xor_b32 s0, exec_lo, s1
; %bb.10:
	v_mul_u32_u24_e32 v1, 56, v3
                                        ; implicit-def: $vgpr3
	s_delay_alu instid0(VALU_DEP_1)
	v_sub_nc_u32_e32 v120, v0, v1
                                        ; implicit-def: $vgpr0
                                        ; implicit-def: $vgpr1_vgpr2
; %bb.11:
	s_or_saveexec_b32 s1, s0
	s_load_b64 s[2:3], s[2:3], 0x0
	s_xor_b32 exec_lo, exec_lo, s1
	s_cbranch_execz .LBB0_15
; %bb.12:
	s_add_u32 s10, s16, s10
	s_addc_u32 s11, s17, s11
	v_mul_u32_u24_e32 v3, 56, v3
	s_load_b64 s[10:11], s[10:11], 0x0
	s_delay_alu instid0(VALU_DEP_1) | instskip(SKIP_1) | instid1(VALU_DEP_2)
	v_sub_nc_u32_e32 v120, v0, v3
	v_lshlrev_b64 v[0:1], 4, v[1:2]
	v_lshlrev_b32_e32 v102, 4, v120
	s_delay_alu instid0(VALU_DEP_1) | instskip(SKIP_4) | instid1(VALU_DEP_1)
	v_or_b32_e32 v2, 0x1c00, v102
	s_waitcnt lgkmcnt(0)
	v_mul_lo_u32 v6, s11, v124
	v_mul_lo_u32 v7, s10, v125
	v_mad_u64_u32 v[4:5], null, s10, v124, 0
	v_add3_u32 v5, v5, v7, v6
	s_delay_alu instid0(VALU_DEP_1) | instskip(SKIP_1) | instid1(VALU_DEP_2)
	v_lshlrev_b64 v[3:4], 4, v[4:5]
	v_or_b32_e32 v5, 0x3800, v102
	v_add_co_u32 v3, s0, s4, v3
	s_delay_alu instid0(VALU_DEP_1) | instskip(NEXT) | instid1(VALU_DEP_2)
	v_add_co_ci_u32_e64 v4, s0, s5, v4, s0
	v_add_co_u32 v0, s0, v3, v0
	s_delay_alu instid0(VALU_DEP_1) | instskip(SKIP_1) | instid1(VALU_DEP_3)
	v_add_co_ci_u32_e64 v1, s0, v4, v1, s0
	v_or_b32_e32 v3, 0x5400, v102
	v_add_co_u32 v18, s0, v0, v102
	s_delay_alu instid0(VALU_DEP_1) | instskip(SKIP_1) | instid1(VALU_DEP_1)
	v_add_co_ci_u32_e64 v19, s0, 0, v1, s0
	v_add_co_u32 v34, s0, v0, v2
	v_add_co_ci_u32_e64 v35, s0, 0, v1, s0
	v_add_co_u32 v66, s0, v0, v5
	s_delay_alu instid0(VALU_DEP_1) | instskip(SKIP_1) | instid1(VALU_DEP_1)
	v_add_co_ci_u32_e64 v67, s0, 0, v1, s0
	v_add_co_u32 v98, s0, v0, v3
	v_add_co_ci_u32_e64 v99, s0, 0, v1, s0
	;; [unrolled: 5-line block ×4, first 2 shown]
	v_add_co_u32 v94, s0, 0x5000, v18
	s_delay_alu instid0(VALU_DEP_1)
	v_add_co_ci_u32_e64 v95, s0, 0, v19, s0
	s_clause 0x18
	global_load_b128 v[2:5], v[18:19], off
	global_load_b128 v[6:9], v[18:19], off offset:896
	global_load_b128 v[10:13], v[18:19], off offset:1792
	global_load_b128 v[14:17], v[18:19], off offset:2688
	global_load_b128 v[18:21], v[18:19], off offset:3584
	global_load_b128 v[22:25], v[38:39], off offset:384
	global_load_b128 v[26:29], v[38:39], off offset:1280
	global_load_b128 v[30:33], v[38:39], off offset:2176
	global_load_b128 v[34:37], v[34:35], off
	global_load_b128 v[38:41], v[38:39], off offset:3968
	global_load_b128 v[42:45], v[54:55], off offset:768
	global_load_b128 v[46:49], v[54:55], off offset:1664
	global_load_b128 v[50:53], v[54:55], off offset:2560
	global_load_b128 v[54:57], v[54:55], off offset:3456
	global_load_b128 v[58:61], v[74:75], off offset:256
	global_load_b128 v[62:65], v[74:75], off offset:1152
	global_load_b128 v[66:69], v[66:67], off
	global_load_b128 v[70:73], v[74:75], off offset:2944
	global_load_b128 v[74:77], v[74:75], off offset:3840
	global_load_b128 v[78:81], v[90:91], off offset:640
	global_load_b128 v[82:85], v[90:91], off offset:1536
	global_load_b128 v[86:89], v[90:91], off offset:2432
	global_load_b128 v[90:93], v[90:91], off offset:3328
	global_load_b128 v[94:97], v[94:95], off offset:128
	global_load_b128 v[98:101], v[98:99], off
	v_add_nc_u32_e32 v102, 0, v102
	v_cmp_eq_u32_e64 s0, 55, v120
	s_waitcnt vmcnt(24)
	ds_store_b128 v102, v[2:5]
	s_waitcnt vmcnt(23)
	ds_store_b128 v102, v[6:9] offset:896
	s_waitcnt vmcnt(22)
	ds_store_b128 v102, v[10:13] offset:1792
	;; [unrolled: 2-line block ×24, first 2 shown]
	s_and_saveexec_b32 s4, s0
	s_cbranch_execz .LBB0_14
; %bb.13:
	v_add_co_u32 v0, s0, 0x5000, v0
	s_delay_alu instid0(VALU_DEP_1)
	v_add_co_ci_u32_e64 v1, s0, 0, v1, s0
	v_mov_b32_e32 v4, 0
	v_mov_b32_e32 v120, 55
	global_load_b128 v[0:3], v[0:1], off offset:1920
	s_waitcnt vmcnt(0)
	ds_store_b128 v4, v[0:3] offset:22400
.LBB0_14:
	s_or_b32 exec_lo, exec_lo, s4
.LBB0_15:
	s_delay_alu instid0(SALU_CYCLE_1)
	s_or_b32 exec_lo, exec_lo, s1
	v_lshlrev_b32_e32 v0, 4, v120
	s_waitcnt lgkmcnt(0)
	s_barrier
	buffer_gl0_inv
	s_add_u32 s1, s8, 0x5760
	v_add_nc_u32_e32 v126, 0, v0
	v_sub_nc_u32_e32 v10, 0, v0
	s_addc_u32 s4, s9, 0
	s_mov_b32 s5, exec_lo
                                        ; implicit-def: $vgpr4_vgpr5
	ds_load_b64 v[6:7], v126
	ds_load_b64 v[8:9], v10 offset:22400
	s_waitcnt lgkmcnt(0)
	v_add_f64 v[0:1], v[6:7], v[8:9]
	v_add_f64 v[2:3], v[6:7], -v[8:9]
	v_cmpx_ne_u32_e32 0, v120
	s_xor_b32 s5, exec_lo, s5
	s_cbranch_execz .LBB0_17
; %bb.16:
	v_mov_b32_e32 v121, 0
	v_add_f64 v[13:14], v[6:7], v[8:9]
	v_add_f64 v[15:16], v[6:7], -v[8:9]
	s_delay_alu instid0(VALU_DEP_3) | instskip(NEXT) | instid1(VALU_DEP_1)
	v_lshlrev_b64 v[0:1], 4, v[120:121]
	v_add_co_u32 v0, s0, s1, v0
	s_delay_alu instid0(VALU_DEP_1)
	v_add_co_ci_u32_e64 v1, s0, s4, v1, s0
	global_load_b128 v[2:5], v[0:1], off
	ds_load_b64 v[0:1], v10 offset:22408
	ds_load_b64 v[11:12], v126 offset:8
	s_waitcnt lgkmcnt(0)
	v_add_f64 v[6:7], v[0:1], v[11:12]
	v_add_f64 v[0:1], v[11:12], -v[0:1]
	s_waitcnt vmcnt(0)
	v_fma_f64 v[8:9], v[15:16], v[4:5], v[13:14]
	v_fma_f64 v[11:12], -v[15:16], v[4:5], v[13:14]
	s_delay_alu instid0(VALU_DEP_3) | instskip(SKIP_1) | instid1(VALU_DEP_4)
	v_fma_f64 v[13:14], v[6:7], v[4:5], -v[0:1]
	v_fma_f64 v[4:5], v[6:7], v[4:5], v[0:1]
	v_fma_f64 v[0:1], -v[6:7], v[2:3], v[8:9]
	s_delay_alu instid0(VALU_DEP_4) | instskip(NEXT) | instid1(VALU_DEP_4)
	v_fma_f64 v[6:7], v[6:7], v[2:3], v[11:12]
	v_fma_f64 v[8:9], v[15:16], v[2:3], v[13:14]
	s_delay_alu instid0(VALU_DEP_4)
	v_fma_f64 v[2:3], v[15:16], v[2:3], v[4:5]
	v_dual_mov_b32 v4, v120 :: v_dual_mov_b32 v5, v121
	ds_store_b128 v10, v[6:9] offset:22400
.LBB0_17:
	s_and_not1_saveexec_b32 s0, s5
	s_cbranch_execz .LBB0_19
; %bb.18:
	v_mov_b32_e32 v8, 0
	ds_load_b128 v[4:7], v8 offset:11200
	s_waitcnt lgkmcnt(0)
	v_add_f64 v[11:12], v[4:5], v[4:5]
	v_mul_f64 v[13:14], v[6:7], -2.0
	v_mov_b32_e32 v4, 0
	v_mov_b32_e32 v5, 0
	ds_store_b128 v8, v[11:14] offset:11200
.LBB0_19:
	s_or_b32 exec_lo, exec_lo, s0
	v_lshlrev_b64 v[4:5], 4, v[4:5]
	v_or_b32_e32 v104, 0x1c0, v120
	v_mov_b32_e32 v105, 0
	s_delay_alu instid0(VALU_DEP_3) | instskip(NEXT) | instid1(VALU_DEP_1)
	v_add_co_u32 v4, s0, s1, v4
	v_add_co_ci_u32_e64 v5, s0, s4, v5, s0
	s_clause 0x1
	global_load_b128 v[6:9], v[4:5], off offset:896
	global_load_b128 v[11:14], v[4:5], off offset:1792
	ds_store_b128 v126, v[0:3]
	ds_load_b128 v[0:3], v126 offset:896
	ds_load_b128 v[15:18], v10 offset:21504
	global_load_b128 v[19:22], v[4:5], off offset:2688
	s_waitcnt lgkmcnt(0)
	v_add_f64 v[23:24], v[0:1], v[15:16]
	v_add_f64 v[25:26], v[17:18], v[2:3]
	v_add_f64 v[27:28], v[0:1], -v[15:16]
	v_add_f64 v[0:1], v[2:3], -v[17:18]
	s_waitcnt vmcnt(2)
	s_delay_alu instid0(VALU_DEP_2) | instskip(NEXT) | instid1(VALU_DEP_2)
	v_fma_f64 v[2:3], v[27:28], v[8:9], v[23:24]
	v_fma_f64 v[15:16], v[25:26], v[8:9], v[0:1]
	v_fma_f64 v[17:18], -v[27:28], v[8:9], v[23:24]
	v_fma_f64 v[8:9], v[25:26], v[8:9], -v[0:1]
	s_delay_alu instid0(VALU_DEP_4) | instskip(NEXT) | instid1(VALU_DEP_4)
	v_fma_f64 v[0:1], -v[25:26], v[6:7], v[2:3]
	v_fma_f64 v[2:3], v[27:28], v[6:7], v[15:16]
	s_delay_alu instid0(VALU_DEP_4) | instskip(NEXT) | instid1(VALU_DEP_4)
	v_fma_f64 v[15:16], v[25:26], v[6:7], v[17:18]
	v_fma_f64 v[17:18], v[27:28], v[6:7], v[8:9]
	ds_store_b128 v126, v[0:3] offset:896
	ds_store_b128 v10, v[15:18] offset:21504
	ds_load_b128 v[0:3], v126 offset:1792
	ds_load_b128 v[6:9], v10 offset:20608
	global_load_b128 v[15:18], v[4:5], off offset:3584
	s_waitcnt lgkmcnt(0)
	v_add_f64 v[23:24], v[0:1], v[6:7]
	v_add_f64 v[25:26], v[8:9], v[2:3]
	v_add_f64 v[27:28], v[0:1], -v[6:7]
	v_add_f64 v[0:1], v[2:3], -v[8:9]
	s_waitcnt vmcnt(2)
	s_delay_alu instid0(VALU_DEP_2) | instskip(NEXT) | instid1(VALU_DEP_2)
	v_fma_f64 v[2:3], v[27:28], v[13:14], v[23:24]
	v_fma_f64 v[6:7], v[25:26], v[13:14], v[0:1]
	v_fma_f64 v[8:9], -v[27:28], v[13:14], v[23:24]
	v_fma_f64 v[13:14], v[25:26], v[13:14], -v[0:1]
	v_add_co_u32 v23, s0, 0x1000, v4
	s_delay_alu instid0(VALU_DEP_1)
	v_add_co_ci_u32_e64 v24, s0, 0, v5, s0
	v_fma_f64 v[0:1], -v[25:26], v[11:12], v[2:3]
	v_fma_f64 v[2:3], v[27:28], v[11:12], v[6:7]
	v_fma_f64 v[6:7], v[25:26], v[11:12], v[8:9]
	;; [unrolled: 1-line block ×3, first 2 shown]
	ds_store_b128 v126, v[0:3] offset:1792
	ds_store_b128 v10, v[6:9] offset:20608
	ds_load_b128 v[0:3], v126 offset:2688
	ds_load_b128 v[6:9], v10 offset:19712
	global_load_b128 v[11:14], v[23:24], off offset:384
	s_waitcnt lgkmcnt(0)
	v_add_f64 v[25:26], v[0:1], v[6:7]
	v_add_f64 v[27:28], v[8:9], v[2:3]
	v_add_f64 v[29:30], v[0:1], -v[6:7]
	v_add_f64 v[0:1], v[2:3], -v[8:9]
	s_waitcnt vmcnt(2)
	s_delay_alu instid0(VALU_DEP_2) | instskip(NEXT) | instid1(VALU_DEP_2)
	v_fma_f64 v[2:3], v[29:30], v[21:22], v[25:26]
	v_fma_f64 v[6:7], v[27:28], v[21:22], v[0:1]
	v_fma_f64 v[8:9], -v[29:30], v[21:22], v[25:26]
	v_fma_f64 v[21:22], v[27:28], v[21:22], -v[0:1]
	s_delay_alu instid0(VALU_DEP_4) | instskip(NEXT) | instid1(VALU_DEP_4)
	v_fma_f64 v[0:1], -v[27:28], v[19:20], v[2:3]
	v_fma_f64 v[2:3], v[29:30], v[19:20], v[6:7]
	s_delay_alu instid0(VALU_DEP_4) | instskip(NEXT) | instid1(VALU_DEP_4)
	v_fma_f64 v[6:7], v[27:28], v[19:20], v[8:9]
	v_fma_f64 v[8:9], v[29:30], v[19:20], v[21:22]
	ds_store_b128 v126, v[0:3] offset:2688
	ds_store_b128 v10, v[6:9] offset:19712
	ds_load_b128 v[0:3], v126 offset:3584
	ds_load_b128 v[6:9], v10 offset:18816
	global_load_b128 v[19:22], v[23:24], off offset:1280
	s_waitcnt lgkmcnt(0)
	v_add_f64 v[25:26], v[0:1], v[6:7]
	v_add_f64 v[27:28], v[8:9], v[2:3]
	v_add_f64 v[29:30], v[0:1], -v[6:7]
	v_add_f64 v[0:1], v[2:3], -v[8:9]
	s_waitcnt vmcnt(2)
	s_delay_alu instid0(VALU_DEP_2) | instskip(NEXT) | instid1(VALU_DEP_2)
	v_fma_f64 v[2:3], v[29:30], v[17:18], v[25:26]
	v_fma_f64 v[6:7], v[27:28], v[17:18], v[0:1]
	v_fma_f64 v[8:9], -v[29:30], v[17:18], v[25:26]
	v_fma_f64 v[17:18], v[27:28], v[17:18], -v[0:1]
	s_delay_alu instid0(VALU_DEP_4) | instskip(NEXT) | instid1(VALU_DEP_4)
	v_fma_f64 v[0:1], -v[27:28], v[15:16], v[2:3]
	v_fma_f64 v[2:3], v[29:30], v[15:16], v[6:7]
	s_delay_alu instid0(VALU_DEP_4) | instskip(NEXT) | instid1(VALU_DEP_4)
	v_fma_f64 v[6:7], v[27:28], v[15:16], v[8:9]
	v_fma_f64 v[8:9], v[29:30], v[15:16], v[17:18]
	;; [unrolled: 22-line block ×3, first 2 shown]
	v_lshlrev_b64 v[11:12], 4, v[104:105]
	ds_store_b128 v126, v[0:3] offset:4480
	ds_store_b128 v10, v[6:9] offset:17920
	ds_load_b128 v[0:3], v126 offset:5376
	ds_load_b128 v[6:9], v10 offset:17024
	v_add_co_u32 v11, s0, s1, v11
	s_delay_alu instid0(VALU_DEP_1)
	v_add_co_ci_u32_e64 v12, s0, s4, v12, s0
	global_load_b128 v[11:14], v[11:12], off
	s_waitcnt lgkmcnt(0)
	v_add_f64 v[25:26], v[0:1], v[6:7]
	v_add_f64 v[27:28], v[8:9], v[2:3]
	v_add_f64 v[29:30], v[0:1], -v[6:7]
	v_add_f64 v[0:1], v[2:3], -v[8:9]
	s_waitcnt vmcnt(2)
	s_delay_alu instid0(VALU_DEP_2) | instskip(NEXT) | instid1(VALU_DEP_2)
	v_fma_f64 v[2:3], v[29:30], v[21:22], v[25:26]
	v_fma_f64 v[6:7], v[27:28], v[21:22], v[0:1]
	v_fma_f64 v[8:9], -v[29:30], v[21:22], v[25:26]
	v_fma_f64 v[21:22], v[27:28], v[21:22], -v[0:1]
	s_delay_alu instid0(VALU_DEP_4) | instskip(NEXT) | instid1(VALU_DEP_4)
	v_fma_f64 v[0:1], -v[27:28], v[19:20], v[2:3]
	v_fma_f64 v[2:3], v[29:30], v[19:20], v[6:7]
	s_delay_alu instid0(VALU_DEP_4) | instskip(NEXT) | instid1(VALU_DEP_4)
	v_fma_f64 v[6:7], v[27:28], v[19:20], v[8:9]
	v_fma_f64 v[8:9], v[29:30], v[19:20], v[21:22]
	ds_store_b128 v126, v[0:3] offset:5376
	ds_store_b128 v10, v[6:9] offset:17024
	ds_load_b128 v[0:3], v126 offset:6272
	ds_load_b128 v[6:9], v10 offset:16128
	global_load_b128 v[19:22], v[23:24], off offset:3968
	s_waitcnt lgkmcnt(0)
	v_add_f64 v[23:24], v[0:1], v[6:7]
	v_add_f64 v[25:26], v[8:9], v[2:3]
	v_add_f64 v[27:28], v[0:1], -v[6:7]
	v_add_f64 v[0:1], v[2:3], -v[8:9]
	s_waitcnt vmcnt(2)
	s_delay_alu instid0(VALU_DEP_2) | instskip(NEXT) | instid1(VALU_DEP_2)
	v_fma_f64 v[2:3], v[27:28], v[17:18], v[23:24]
	v_fma_f64 v[6:7], v[25:26], v[17:18], v[0:1]
	v_fma_f64 v[8:9], -v[27:28], v[17:18], v[23:24]
	v_fma_f64 v[17:18], v[25:26], v[17:18], -v[0:1]
	s_delay_alu instid0(VALU_DEP_4) | instskip(NEXT) | instid1(VALU_DEP_4)
	v_fma_f64 v[0:1], -v[25:26], v[15:16], v[2:3]
	v_fma_f64 v[2:3], v[27:28], v[15:16], v[6:7]
	s_delay_alu instid0(VALU_DEP_4) | instskip(NEXT) | instid1(VALU_DEP_4)
	v_fma_f64 v[6:7], v[25:26], v[15:16], v[8:9]
	v_fma_f64 v[8:9], v[27:28], v[15:16], v[17:18]
	ds_store_b128 v126, v[0:3] offset:6272
	ds_store_b128 v10, v[6:9] offset:16128
	ds_load_b128 v[6:9], v126 offset:7168
	ds_load_b128 v[15:18], v10 offset:15232
	v_add_co_u32 v0, s0, 0x2000, v4
	s_delay_alu instid0(VALU_DEP_1)
	v_add_co_ci_u32_e64 v1, s0, 0, v5, s0
	v_cmp_gt_u32_e64 s0, 28, v120
	global_load_b128 v[2:5], v[0:1], off offset:768
	s_waitcnt lgkmcnt(0)
	v_add_f64 v[23:24], v[6:7], v[15:16]
	v_add_f64 v[25:26], v[17:18], v[8:9]
	v_add_f64 v[15:16], v[6:7], -v[15:16]
	v_add_f64 v[6:7], v[8:9], -v[17:18]
	s_waitcnt vmcnt(2)
	s_delay_alu instid0(VALU_DEP_2) | instskip(NEXT) | instid1(VALU_DEP_2)
	v_fma_f64 v[8:9], v[15:16], v[13:14], v[23:24]
	v_fma_f64 v[17:18], v[25:26], v[13:14], v[6:7]
	v_fma_f64 v[23:24], -v[15:16], v[13:14], v[23:24]
	v_fma_f64 v[27:28], v[25:26], v[13:14], -v[6:7]
	s_delay_alu instid0(VALU_DEP_4) | instskip(NEXT) | instid1(VALU_DEP_4)
	v_fma_f64 v[6:7], -v[25:26], v[11:12], v[8:9]
	v_fma_f64 v[8:9], v[15:16], v[11:12], v[17:18]
	s_delay_alu instid0(VALU_DEP_4) | instskip(NEXT) | instid1(VALU_DEP_4)
	v_fma_f64 v[13:14], v[25:26], v[11:12], v[23:24]
	v_fma_f64 v[15:16], v[15:16], v[11:12], v[27:28]
	ds_store_b128 v126, v[6:9] offset:7168
	ds_store_b128 v10, v[13:16] offset:15232
	ds_load_b128 v[6:9], v126 offset:8064
	ds_load_b128 v[11:14], v10 offset:14336
	global_load_b128 v[15:18], v[0:1], off offset:1664
	s_waitcnt lgkmcnt(0)
	v_add_f64 v[23:24], v[6:7], v[11:12]
	v_add_f64 v[25:26], v[13:14], v[8:9]
	v_add_f64 v[27:28], v[6:7], -v[11:12]
	v_add_f64 v[6:7], v[8:9], -v[13:14]
	s_waitcnt vmcnt(2)
	s_delay_alu instid0(VALU_DEP_2) | instskip(NEXT) | instid1(VALU_DEP_2)
	v_fma_f64 v[8:9], v[27:28], v[21:22], v[23:24]
	v_fma_f64 v[11:12], v[25:26], v[21:22], v[6:7]
	v_fma_f64 v[13:14], -v[27:28], v[21:22], v[23:24]
	v_fma_f64 v[21:22], v[25:26], v[21:22], -v[6:7]
	s_delay_alu instid0(VALU_DEP_4) | instskip(NEXT) | instid1(VALU_DEP_4)
	v_fma_f64 v[6:7], -v[25:26], v[19:20], v[8:9]
	v_fma_f64 v[8:9], v[27:28], v[19:20], v[11:12]
	s_delay_alu instid0(VALU_DEP_4) | instskip(NEXT) | instid1(VALU_DEP_4)
	v_fma_f64 v[11:12], v[25:26], v[19:20], v[13:14]
	v_fma_f64 v[13:14], v[27:28], v[19:20], v[21:22]
	ds_store_b128 v126, v[6:9] offset:8064
	ds_store_b128 v10, v[11:14] offset:14336
	ds_load_b128 v[6:9], v126 offset:8960
	ds_load_b128 v[11:14], v10 offset:13440
	s_waitcnt lgkmcnt(0)
	v_add_f64 v[19:20], v[6:7], v[11:12]
	v_add_f64 v[21:22], v[13:14], v[8:9]
	v_add_f64 v[23:24], v[6:7], -v[11:12]
	v_add_f64 v[6:7], v[8:9], -v[13:14]
	s_waitcnt vmcnt(1)
	s_delay_alu instid0(VALU_DEP_2) | instskip(NEXT) | instid1(VALU_DEP_2)
	v_fma_f64 v[8:9], v[23:24], v[4:5], v[19:20]
	v_fma_f64 v[11:12], v[21:22], v[4:5], v[6:7]
	v_fma_f64 v[13:14], -v[23:24], v[4:5], v[19:20]
	v_fma_f64 v[19:20], v[21:22], v[4:5], -v[6:7]
	s_delay_alu instid0(VALU_DEP_4) | instskip(NEXT) | instid1(VALU_DEP_4)
	v_fma_f64 v[4:5], -v[21:22], v[2:3], v[8:9]
	v_fma_f64 v[6:7], v[23:24], v[2:3], v[11:12]
	s_delay_alu instid0(VALU_DEP_4) | instskip(NEXT) | instid1(VALU_DEP_4)
	v_fma_f64 v[11:12], v[21:22], v[2:3], v[13:14]
	v_fma_f64 v[13:14], v[23:24], v[2:3], v[19:20]
	ds_store_b128 v126, v[4:7] offset:8960
	ds_store_b128 v10, v[11:14] offset:13440
	ds_load_b128 v[2:5], v126 offset:9856
	ds_load_b128 v[6:9], v10 offset:12544
	s_waitcnt lgkmcnt(0)
	v_add_f64 v[11:12], v[2:3], v[6:7]
	v_add_f64 v[13:14], v[8:9], v[4:5]
	v_add_f64 v[19:20], v[2:3], -v[6:7]
	v_add_f64 v[2:3], v[4:5], -v[8:9]
	s_waitcnt vmcnt(0)
	s_delay_alu instid0(VALU_DEP_2) | instskip(NEXT) | instid1(VALU_DEP_2)
	v_fma_f64 v[4:5], v[19:20], v[17:18], v[11:12]
	v_fma_f64 v[6:7], v[13:14], v[17:18], v[2:3]
	v_fma_f64 v[8:9], -v[19:20], v[17:18], v[11:12]
	v_fma_f64 v[11:12], v[13:14], v[17:18], -v[2:3]
	s_delay_alu instid0(VALU_DEP_4) | instskip(NEXT) | instid1(VALU_DEP_4)
	v_fma_f64 v[2:3], -v[13:14], v[15:16], v[4:5]
	v_fma_f64 v[4:5], v[19:20], v[15:16], v[6:7]
	s_delay_alu instid0(VALU_DEP_4) | instskip(NEXT) | instid1(VALU_DEP_4)
	v_fma_f64 v[6:7], v[13:14], v[15:16], v[8:9]
	v_fma_f64 v[8:9], v[19:20], v[15:16], v[11:12]
	ds_store_b128 v126, v[2:5] offset:9856
	ds_store_b128 v10, v[6:9] offset:12544
	s_and_saveexec_b32 s1, s0
	s_cbranch_execz .LBB0_21
; %bb.20:
	global_load_b128 v[0:3], v[0:1], off offset:2560
	ds_load_b128 v[4:7], v126 offset:10752
	ds_load_b128 v[11:14], v10 offset:11648
	s_waitcnt lgkmcnt(0)
	v_add_f64 v[8:9], v[4:5], v[11:12]
	v_add_f64 v[15:16], v[13:14], v[6:7]
	v_add_f64 v[11:12], v[4:5], -v[11:12]
	v_add_f64 v[4:5], v[6:7], -v[13:14]
	s_waitcnt vmcnt(0)
	s_delay_alu instid0(VALU_DEP_2) | instskip(NEXT) | instid1(VALU_DEP_2)
	v_fma_f64 v[6:7], v[11:12], v[2:3], v[8:9]
	v_fma_f64 v[13:14], v[15:16], v[2:3], v[4:5]
	v_fma_f64 v[8:9], -v[11:12], v[2:3], v[8:9]
	v_fma_f64 v[17:18], v[15:16], v[2:3], -v[4:5]
	s_delay_alu instid0(VALU_DEP_4) | instskip(NEXT) | instid1(VALU_DEP_4)
	v_fma_f64 v[2:3], -v[15:16], v[0:1], v[6:7]
	v_fma_f64 v[4:5], v[11:12], v[0:1], v[13:14]
	s_delay_alu instid0(VALU_DEP_4) | instskip(NEXT) | instid1(VALU_DEP_4)
	v_fma_f64 v[6:7], v[15:16], v[0:1], v[8:9]
	v_fma_f64 v[8:9], v[11:12], v[0:1], v[17:18]
	ds_store_b128 v126, v[2:5] offset:10752
	ds_store_b128 v10, v[6:9] offset:11648
.LBB0_21:
	s_or_b32 exec_lo, exec_lo, s1
	s_waitcnt lgkmcnt(0)
	s_barrier
	buffer_gl0_inv
	s_barrier
	buffer_gl0_inv
	ds_load_b128 v[0:3], v126 offset:11200
	ds_load_b128 v[4:7], v126
	ds_load_b128 v[8:11], v126 offset:896
	ds_load_b128 v[12:15], v126 offset:12096
	;; [unrolled: 1-line block ×10, first 2 shown]
	v_add_nc_u32_e32 v129, 56, v120
	v_add_nc_u32_e32 v128, 0x70, v120
	;; [unrolled: 1-line block ×9, first 2 shown]
	s_waitcnt lgkmcnt(10)
	v_add_f64 v[48:49], v[4:5], -v[0:1]
	v_add_f64 v[50:51], v[6:7], -v[2:3]
	ds_load_b128 v[0:3], v126 offset:15680
	ds_load_b128 v[52:55], v126 offset:16576
	;; [unrolled: 1-line block ×14, first 2 shown]
	s_waitcnt lgkmcnt(22)
	v_add_f64 v[12:13], v[8:9], -v[12:13]
	v_add_f64 v[14:15], v[10:11], -v[14:15]
	s_waitcnt lgkmcnt(20)
	v_add_f64 v[16:17], v[20:21], -v[16:17]
	v_add_f64 v[18:19], v[22:23], -v[18:19]
	;; [unrolled: 3-line block ×4, first 2 shown]
	s_waitcnt lgkmcnt(0)
	s_barrier
	buffer_gl0_inv
	v_add_nc_u32_e32 v119, 0x268, v120
	v_add_f64 v[108:109], v[44:45], -v[0:1]
	v_add_f64 v[110:111], v[46:47], -v[2:3]
	;; [unrolled: 1-line block ×16, first 2 shown]
	v_lshl_add_u32 v100, v120, 5, 0
	v_lshl_add_u32 v101, v129, 5, 0
	;; [unrolled: 1-line block ×3, first 2 shown]
	v_add_nc_u32_e32 v116, 0x2a0, v120
	v_fma_f64 v[4:5], v[4:5], 2.0, -v[48:49]
	v_fma_f64 v[6:7], v[6:7], 2.0, -v[50:51]
	;; [unrolled: 1-line block ×10, first 2 shown]
	ds_store_b128 v100, v[4:7]
	ds_store_b128 v100, v[48:51] offset:16
	ds_store_b128 v101, v[8:11]
	ds_store_b128 v101, v[12:15] offset:16
	;; [unrolled: 2-line block ×3, first 2 shown]
	v_fma_f64 v[44:45], v[44:45], 2.0, -v[108:109]
	v_fma_f64 v[46:47], v[46:47], 2.0, -v[110:111]
	;; [unrolled: 1-line block ×16, first 2 shown]
	v_lshl_add_u32 v4, v127, 5, 0
	ds_store_b128 v4, v[28:31]
	ds_store_b128 v4, v[32:35] offset:16
	v_lshl_add_u32 v4, v121, 5, 0
	v_lshl_add_u32 v5, v105, 5, 0
	ds_store_b128 v4, v[40:43]
	ds_store_b128 v4, v[36:39] offset:16
	v_lshl_add_u32 v4, v107, 5, 0
	v_lshl_add_u32 v6, v106, 5, 0
	ds_store_b128 v5, v[44:47]
	ds_store_b128 v5, v[108:111] offset:16
	ds_store_b128 v6, v[56:59]
	ds_store_b128 v6, v[112:115] offset:16
	v_lshl_add_u32 v5, v104, 5, 0
	ds_store_b128 v4, v[60:63]
	ds_store_b128 v4, v[64:67] offset:16
	v_lshl_add_u32 v4, v117, 5, 0
	v_lshl_add_u32 v6, v118, 5, 0
	ds_store_b128 v5, v[72:75]
	ds_store_b128 v5, v[68:71] offset:16
	v_lshl_add_u32 v5, v119, 5, 0
	ds_store_b128 v4, v[76:79]
	ds_store_b128 v4, v[80:83] offset:16
	ds_store_b128 v6, v[88:91]
	ds_store_b128 v6, v[84:87] offset:16
	;; [unrolled: 2-line block ×3, first 2 shown]
	s_and_saveexec_b32 s1, s0
	s_cbranch_execz .LBB0_23
; %bb.22:
	v_lshl_add_u32 v4, v116, 5, 0
	ds_store_b128 v4, v[0:3]
	ds_store_b128 v4, v[52:55] offset:16
.LBB0_23:
	s_or_b32 exec_lo, exec_lo, s1
	s_waitcnt lgkmcnt(0)
	s_barrier
	buffer_gl0_inv
	ds_load_b128 v[4:7], v126
	ds_load_b128 v[8:11], v126 offset:896
	ds_load_b128 v[60:63], v126 offset:11200
	;; [unrolled: 1-line block ×23, first 2 shown]
	v_lshlrev_b32_e32 v115, 1, v120
	v_lshlrev_b32_e32 v114, 1, v129
	;; [unrolled: 1-line block ×12, first 2 shown]
	s_and_saveexec_b32 s1, s0
	s_cbranch_execz .LBB0_25
; %bb.24:
	ds_load_b128 v[0:3], v126 offset:10752
	ds_load_b128 v[52:55], v126 offset:21952
.LBB0_25:
	s_or_b32 exec_lo, exec_lo, s1
	v_and_b32_e32 v117, 1, v120
	v_lshlrev_b32_e32 v116, 1, v116
	s_delay_alu instid0(VALU_DEP_2)
	v_lshlrev_b32_e32 v118, 4, v117
	global_load_b128 v[130:133], v118, s[8:9]
	s_waitcnt vmcnt(0) lgkmcnt(0)
	s_barrier
	buffer_gl0_inv
	v_mul_f64 v[118:119], v[62:63], v[132:133]
	v_mul_f64 v[134:135], v[60:61], v[132:133]
	;; [unrolled: 1-line block ×26, first 2 shown]
	v_fma_f64 v[60:61], v[60:61], v[130:131], v[118:119]
	v_fma_f64 v[62:63], v[62:63], v[130:131], -v[134:135]
	v_fma_f64 v[118:119], v[56:57], v[130:131], v[136:137]
	v_fma_f64 v[134:135], v[58:59], v[130:131], -v[138:139]
	;; [unrolled: 2-line block ×13, first 2 shown]
	v_and_or_b32 v156, 0x7c, v115, v117
	v_and_or_b32 v157, 0xfc, v114, v117
	v_add_f64 v[56:57], v[4:5], -v[60:61]
	v_add_f64 v[58:59], v[6:7], -v[62:63]
	v_add_f64 v[60:61], v[8:9], -v[118:119]
	v_add_f64 v[62:63], v[10:11], -v[134:135]
	v_add_f64 v[64:65], v[12:13], -v[68:69]
	v_add_f64 v[66:67], v[14:15], -v[70:71]
	v_add_f64 v[68:69], v[16:17], -v[136:137]
	v_add_f64 v[70:71], v[18:19], -v[138:139]
	v_add_f64 v[72:73], v[20:21], -v[76:77]
	v_add_f64 v[74:75], v[22:23], -v[78:79]
	v_add_f64 v[76:77], v[24:25], -v[140:141]
	v_add_f64 v[78:79], v[26:27], -v[142:143]
	v_add_f64 v[80:81], v[28:29], -v[84:85]
	v_add_f64 v[82:83], v[30:31], -v[86:87]
	v_add_f64 v[84:85], v[32:33], -v[144:145]
	v_add_f64 v[86:87], v[34:35], -v[146:147]
	v_add_f64 v[88:89], v[36:37], -v[92:93]
	v_add_f64 v[90:91], v[38:39], -v[94:95]
	v_add_f64 v[92:93], v[40:41], -v[148:149]
	v_add_f64 v[94:95], v[42:43], -v[150:151]
	v_add_f64 v[96:97], v[44:45], -v[100:101]
	v_add_f64 v[98:99], v[46:47], -v[102:103]
	v_add_f64 v[100:101], v[48:49], -v[152:153]
	v_add_f64 v[102:103], v[50:51], -v[154:155]
	v_add_f64 v[52:53], v[0:1], -v[52:53]
	v_add_f64 v[54:55], v[2:3], -v[54:55]
	v_and_or_b32 v118, 0x1fc, v113, v117
	v_and_or_b32 v119, 0x1fc, v112, v117
	;; [unrolled: 1-line block ×10, first 2 shown]
	v_fma_f64 v[130:131], v[4:5], 2.0, -v[56:57]
	v_fma_f64 v[132:133], v[6:7], 2.0, -v[58:59]
	;; [unrolled: 1-line block ×26, first 2 shown]
	v_lshl_add_u32 v0, v156, 4, 0
	v_lshl_add_u32 v1, v157, 4, 0
	;; [unrolled: 1-line block ×12, first 2 shown]
	ds_store_b128 v0, v[130:133]
	ds_store_b128 v0, v[56:59] offset:32
	ds_store_b128 v1, v[8:11]
	ds_store_b128 v1, v[60:63] offset:32
	;; [unrolled: 2-line block ×12, first 2 shown]
	s_and_saveexec_b32 s1, s0
	s_cbranch_execz .LBB0_27
; %bb.26:
	v_and_or_b32 v0, 0x57c, v116, v117
	s_delay_alu instid0(VALU_DEP_1)
	v_lshl_add_u32 v0, v0, 4, 0
	ds_store_b128 v0, v[4:7]
	ds_store_b128 v0, v[52:55] offset:32
.LBB0_27:
	s_or_b32 exec_lo, exec_lo, s1
	s_waitcnt lgkmcnt(0)
	s_barrier
	buffer_gl0_inv
	ds_load_b128 v[0:3], v126
	ds_load_b128 v[8:11], v126 offset:896
	ds_load_b128 v[60:63], v126 offset:11200
	;; [unrolled: 1-line block ×23, first 2 shown]
	s_and_saveexec_b32 s1, s0
	s_cbranch_execz .LBB0_29
; %bb.28:
	ds_load_b128 v[4:7], v126 offset:10752
	ds_load_b128 v[52:55], v126 offset:21952
.LBB0_29:
	s_or_b32 exec_lo, exec_lo, s1
	v_and_b32_e32 v117, 3, v120
	s_delay_alu instid0(VALU_DEP_1)
	v_lshlrev_b32_e32 v118, 4, v117
	v_and_or_b32 v113, 0x1f8, v113, v117
	v_and_or_b32 v112, 0x1f8, v112, v117
	;; [unrolled: 1-line block ×4, first 2 shown]
	global_load_b128 v[130:133], v118, s[8:9] offset:32
	v_and_or_b32 v109, 0x3f8, v109, v117
	v_and_or_b32 v108, 0x3f8, v108, v117
	;; [unrolled: 1-line block ×6, first 2 shown]
	v_lshl_add_u32 v113, v113, 4, 0
	s_waitcnt vmcnt(0) lgkmcnt(0)
	s_barrier
	buffer_gl0_inv
	v_lshl_add_u32 v112, v112, 4, 0
	v_lshl_add_u32 v111, v111, 4, 0
	;; [unrolled: 1-line block ×9, first 2 shown]
	v_mul_f64 v[118:119], v[62:63], v[132:133]
	v_mul_f64 v[134:135], v[60:61], v[132:133]
	;; [unrolled: 1-line block ×24, first 2 shown]
	v_fma_f64 v[60:61], v[60:61], v[130:131], v[118:119]
	v_fma_f64 v[62:63], v[62:63], v[130:131], -v[134:135]
	v_fma_f64 v[118:119], v[56:57], v[130:131], v[136:137]
	v_fma_f64 v[84:85], v[84:85], v[130:131], v[156:157]
	v_mul_f64 v[156:157], v[54:55], v[132:133]
	v_mul_f64 v[132:133], v[52:53], v[132:133]
	v_fma_f64 v[134:135], v[58:59], v[130:131], -v[138:139]
	v_fma_f64 v[68:69], v[68:69], v[130:131], v[140:141]
	v_fma_f64 v[70:71], v[70:71], v[130:131], -v[142:143]
	v_fma_f64 v[136:137], v[64:65], v[130:131], v[144:145]
	v_fma_f64 v[138:139], v[66:67], v[130:131], -v[146:147]
	v_fma_f64 v[76:77], v[76:77], v[130:131], v[148:149]
	v_fma_f64 v[78:79], v[78:79], v[130:131], -v[150:151]
	v_fma_f64 v[140:141], v[72:73], v[130:131], v[152:153]
	v_fma_f64 v[142:143], v[74:75], v[130:131], -v[154:155]
	v_fma_f64 v[86:87], v[86:87], v[130:131], -v[158:159]
	v_fma_f64 v[144:145], v[80:81], v[130:131], v[160:161]
	v_fma_f64 v[146:147], v[82:83], v[130:131], -v[162:163]
	v_fma_f64 v[92:93], v[92:93], v[130:131], v[164:165]
	;; [unrolled: 2-line block ×5, first 2 shown]
	v_fma_f64 v[154:155], v[98:99], v[130:131], -v[178:179]
	v_and_or_b32 v158, 0x78, v115, v117
	v_and_or_b32 v159, 0xf8, v114, v117
	v_add_f64 v[56:57], v[0:1], -v[60:61]
	v_add_f64 v[58:59], v[2:3], -v[62:63]
	;; [unrolled: 1-line block ×4, first 2 shown]
	v_fma_f64 v[114:115], v[52:53], v[130:131], v[156:157]
	v_fma_f64 v[118:119], v[54:55], v[130:131], -v[132:133]
	v_add_f64 v[62:63], v[10:11], -v[134:135]
	v_add_f64 v[64:65], v[12:13], -v[68:69]
	v_add_f64 v[66:67], v[14:15], -v[70:71]
	v_add_f64 v[68:69], v[16:17], -v[136:137]
	v_add_f64 v[70:71], v[18:19], -v[138:139]
	v_add_f64 v[72:73], v[20:21], -v[76:77]
	v_add_f64 v[74:75], v[22:23], -v[78:79]
	v_add_f64 v[76:77], v[24:25], -v[140:141]
	v_add_f64 v[78:79], v[26:27], -v[142:143]
	v_add_f64 v[82:83], v[30:31], -v[86:87]
	v_add_f64 v[84:85], v[32:33], -v[144:145]
	v_add_f64 v[86:87], v[34:35], -v[146:147]
	v_add_f64 v[88:89], v[36:37], -v[92:93]
	v_add_f64 v[90:91], v[38:39], -v[94:95]
	v_add_f64 v[92:93], v[40:41], -v[148:149]
	v_add_f64 v[94:95], v[42:43], -v[150:151]
	v_add_f64 v[96:97], v[44:45], -v[100:101]
	v_add_f64 v[98:99], v[46:47], -v[102:103]
	v_add_f64 v[100:101], v[48:49], -v[152:153]
	v_add_f64 v[102:103], v[50:51], -v[154:155]
	v_fma_f64 v[52:53], v[0:1], 2.0, -v[56:57]
	v_fma_f64 v[54:55], v[2:3], 2.0, -v[58:59]
	;; [unrolled: 1-line block ×4, first 2 shown]
	v_add_f64 v[0:1], v[4:5], -v[114:115]
	v_add_f64 v[2:3], v[6:7], -v[118:119]
	v_fma_f64 v[10:11], v[10:11], 2.0, -v[62:63]
	v_fma_f64 v[12:13], v[12:13], 2.0, -v[64:65]
	;; [unrolled: 1-line block ×20, first 2 shown]
	v_lshl_add_u32 v114, v158, 4, 0
	v_lshl_add_u32 v115, v159, 4, 0
	ds_store_b128 v114, v[52:55]
	ds_store_b128 v114, v[56:59] offset:64
	ds_store_b128 v115, v[8:11]
	ds_store_b128 v115, v[60:63] offset:64
	;; [unrolled: 2-line block ×12, first 2 shown]
	s_and_saveexec_b32 s1, s0
	s_cbranch_execz .LBB0_31
; %bb.30:
	v_fma_f64 v[6:7], v[6:7], 2.0, -v[2:3]
	v_fma_f64 v[4:5], v[4:5], 2.0, -v[0:1]
	v_and_or_b32 v8, 0x578, v116, v117
	s_delay_alu instid0(VALU_DEP_1)
	v_lshl_add_u32 v8, v8, 4, 0
	ds_store_b128 v8, v[4:7]
	ds_store_b128 v8, v[0:3] offset:64
.LBB0_31:
	s_or_b32 exec_lo, exec_lo, s1
	v_and_b32_e32 v130, 7, v120
	s_waitcnt lgkmcnt(0)
	s_barrier
	buffer_gl0_inv
	v_lshrrev_b32_e32 v205, 3, v128
	v_lshlrev_b32_e32 v4, 6, v130
	v_lshrrev_b32_e32 v206, 3, v127
	v_lshrrev_b32_e32 v203, 3, v120
	;; [unrolled: 1-line block ×3, first 2 shown]
	v_mul_u32_u24_e32 v243, 40, v205
	s_clause 0x3
	global_load_b128 v[20:23], v4, s[8:9] offset:96
	global_load_b128 v[16:19], v4, s[8:9] offset:112
	;; [unrolled: 1-line block ×4, first 2 shown]
	ds_load_b128 v[92:95], v126 offset:8960
	ds_load_b128 v[76:79], v126 offset:9856
	;; [unrolled: 1-line block ×21, first 2 shown]
	ds_load_b128 v[100:103], v126
	ds_load_b128 v[116:119], v126 offset:896
	ds_load_b128 v[104:107], v126 offset:1792
	;; [unrolled: 1-line block ×3, first 2 shown]
	v_mul_u32_u24_e32 v244, 40, v206
	v_mul_u32_u24_e32 v241, 40, v203
	;; [unrolled: 1-line block ×3, first 2 shown]
	s_mov_b32 s12, 0x134454ff
	s_mov_b32 s13, 0xbfee6f0e
	;; [unrolled: 1-line block ×10, first 2 shown]
	s_waitcnt vmcnt(0) lgkmcnt(0)
	s_barrier
	buffer_gl0_inv
	v_mul_f64 v[131:132], v[110:111], v[22:23]
	v_mul_f64 v[133:134], v[108:109], v[22:23]
	;; [unrolled: 1-line block ×40, first 2 shown]
	v_fma_f64 v[108:109], v[108:109], v[20:21], v[131:132]
	v_fma_f64 v[110:111], v[110:111], v[20:21], -v[133:134]
	v_fma_f64 v[92:93], v[92:93], v[16:17], v[135:136]
	v_fma_f64 v[94:95], v[94:95], v[16:17], -v[137:138]
	;; [unrolled: 2-line block ×18, first 2 shown]
	v_fma_f64 v[18:19], v[28:29], v[12:13], v[199:200]
	v_fma_f64 v[40:41], v[32:33], v[8:9], v[201:202]
	v_fma_f64 v[12:13], v[30:31], v[12:13], -v[14:15]
	v_fma_f64 v[8:9], v[34:35], v[8:9], -v[10:11]
	v_lshrrev_b32_e32 v10, 3, v121
	v_add_f64 v[26:27], v[108:109], -v[92:93]
	v_add_f64 v[14:15], v[92:93], v[112:113]
	v_add_f64 v[30:31], v[94:95], v[114:115]
	;; [unrolled: 1-line block ×3, first 2 shown]
	v_mul_u32_u24_e32 v245, 40, v10
	v_add_f64 v[10:11], v[100:101], v[108:109]
	v_add_f64 v[34:35], v[84:85], -v[112:113]
	v_add_f64 v[141:142], v[102:103], v[110:111]
	v_add_f64 v[175:176], v[116:117], v[88:89]
	;; [unrolled: 1-line block ×8, first 2 shown]
	v_add_f64 v[42:43], v[92:93], -v[108:109]
	v_add_f64 v[139:140], v[112:113], -v[84:85]
	v_add_f64 v[143:144], v[64:65], v[48:49]
	v_add_f64 v[147:148], v[66:67], v[50:51]
	;; [unrolled: 1-line block ×4, first 2 shown]
	v_add_f64 v[151:152], v[110:111], -v[94:95]
	v_add_f64 v[207:208], v[98:99], v[70:71]
	v_add_f64 v[153:154], v[86:87], -v[114:115]
	v_add_f64 v[205:206], v[96:97], v[68:69]
	v_add_f64 v[155:156], v[36:37], v[72:73]
	v_add_f64 v[159:160], v[38:39], v[74:75]
	v_add_f64 v[157:158], v[68:69], v[131:132]
	v_add_f64 v[161:162], v[70:71], v[133:134]
	v_add_f64 v[163:164], v[94:95], -v[110:111]
	v_add_f64 v[165:166], v[114:115], -v[86:87]
	v_add_f64 v[211:212], v[6:7], v[20:21]
	v_add_f64 v[177:178], v[88:89], -v[76:77]
	v_add_f64 v[167:168], v[22:23], v[18:19]
	v_add_f64 v[169:170], v[24:25], v[40:41]
	;; [unrolled: 1-line block ×4, first 2 shown]
	v_add_f64 v[179:180], v[56:57], -v[80:81]
	v_add_f64 v[209:210], v[4:5], v[24:25]
	v_add_f64 v[181:182], v[76:77], -v[88:89]
	v_add_f64 v[187:188], v[90:91], -v[78:79]
	;; [unrolled: 1-line block ×3, first 2 shown]
	v_add_f64 v[195:196], v[104:105], v[60:61]
	v_add_f64 v[203:204], v[106:107], v[62:63]
	v_fma_f64 v[14:15], v[14:15], -0.5, v[100:101]
	v_fma_f64 v[28:29], v[28:29], -0.5, v[100:101]
	;; [unrolled: 1-line block ×4, first 2 shown]
	v_add_f64 v[110:111], v[110:111], -v[86:87]
	v_fma_f64 v[46:47], v[46:47], -0.5, v[116:117]
	v_fma_f64 v[116:117], v[135:136], -0.5, v[118:119]
	;; [unrolled: 1-line block ×3, first 2 shown]
	v_add_f64 v[137:138], v[94:95], -v[114:115]
	v_add_f64 v[237:238], v[26:27], v[34:35]
	v_add_f64 v[26:27], v[16:17], -v[20:21]
	v_fma_f64 v[143:144], v[143:144], -0.5, v[104:105]
	v_add_f64 v[10:11], v[10:11], v[92:93]
	v_fma_f64 v[104:105], v[145:146], -0.5, v[104:105]
	v_fma_f64 v[145:146], v[147:148], -0.5, v[106:107]
	;; [unrolled: 1-line block ×3, first 2 shown]
	v_add_f64 v[147:148], v[92:93], -v[112:113]
	v_add_f64 v[149:150], v[76:77], -v[80:81]
	v_add_f64 v[34:35], v[12:13], -v[8:9]
	v_fma_f64 v[155:156], v[155:156], -0.5, v[96:97]
	v_add_f64 v[92:93], v[108:109], -v[84:85]
	v_fma_f64 v[96:97], v[157:158], -0.5, v[96:97]
	v_fma_f64 v[157:158], v[159:160], -0.5, v[98:99]
	;; [unrolled: 1-line block ×3, first 2 shown]
	v_add_f64 v[159:160], v[22:23], -v[24:25]
	v_add_f64 v[161:162], v[18:19], -v[40:41]
	v_add_f64 v[94:95], v[141:142], v[94:95]
	v_fma_f64 v[167:168], v[167:168], -0.5, v[4:5]
	v_fma_f64 v[4:5], v[169:170], -0.5, v[4:5]
	;; [unrolled: 1-line block ×4, first 2 shown]
	v_add_f64 v[171:172], v[20:21], -v[16:17]
	v_add_f64 v[173:174], v[8:9], -v[12:13]
	v_add_f64 v[108:109], v[78:79], -v[82:83]
	v_add_f64 v[76:77], v[175:176], v[76:77]
	v_add_f64 v[78:79], v[185:186], v[78:79]
	v_fma_f64 v[32:33], v[32:33], -0.5, v[102:103]
	v_add_f64 v[235:236], v[38:39], -v[70:71]
	v_add_f64 v[100:101], v[74:75], -v[133:134]
	;; [unrolled: 1-line block ×13, first 2 shown]
	v_add_f64 v[42:43], v[42:43], v[139:140]
	v_add_f64 v[139:140], v[38:39], -v[74:75]
	v_add_f64 v[38:39], v[207:208], v[38:39]
	v_add_f64 v[223:224], v[68:69], -v[36:37]
	v_add_f64 v[227:228], v[36:37], -v[68:69]
	;; [unrolled: 1-line block ×4, first 2 shown]
	v_add_f64 v[151:152], v[151:152], v[153:154]
	v_add_f64 v[153:154], v[36:37], -v[72:73]
	v_add_f64 v[36:37], v[205:206], v[36:37]
	v_add_f64 v[70:71], v[70:71], -v[133:134]
	v_add_f64 v[68:69], v[68:69], -v[131:132]
	v_add_f64 v[163:164], v[163:164], v[165:166]
	v_add_f64 v[165:166], v[16:17], -v[12:13]
	v_add_f64 v[16:17], v[211:212], v[16:17]
	v_add_f64 v[183:184], v[80:81], -v[56:57]
	v_add_f64 v[189:190], v[58:59], -v[82:83]
	;; [unrolled: 1-line block ×6, first 2 shown]
	v_add_f64 v[177:178], v[177:178], v[179:180]
	v_add_f64 v[179:180], v[22:23], -v[18:19]
	v_add_f64 v[22:23], v[209:210], v[22:23]
	v_add_f64 v[217:218], v[54:55], -v[50:51]
	v_add_f64 v[20:21], v[195:196], v[64:65]
	v_add_f64 v[24:25], v[203:204], v[66:67]
	;; [unrolled: 1-line block ×9, first 2 shown]
	v_fma_f64 v[66:67], v[110:111], s[12:13], v[14:15]
	v_fma_f64 v[76:77], v[137:138], s[14:15], v[28:29]
	v_fma_f64 v[28:29], v[137:138], s[12:13], v[28:29]
	v_fma_f64 v[78:79], v[92:93], s[14:15], v[30:31]
	v_fma_f64 v[80:81], v[147:148], s[12:13], v[32:33]
	v_fma_f64 v[32:33], v[147:148], s[14:15], v[32:33]
	v_fma_f64 v[14:15], v[110:111], s[14:15], v[14:15]
	v_fma_f64 v[30:31], v[92:93], s[12:13], v[30:31]
	v_add_f64 v[203:204], v[235:236], v[100:101]
	v_fma_f64 v[82:83], v[90:91], s[12:13], v[44:45]
	v_fma_f64 v[94:95], v[108:109], s[14:15], v[46:47]
	;; [unrolled: 1-line block ×6, first 2 shown]
	v_add_f64 v[135:136], v[102:103], v[135:136]
	v_fma_f64 v[44:45], v[90:91], s[14:15], v[44:45]
	v_fma_f64 v[102:103], v[88:89], s[12:13], v[116:117]
	v_add_f64 v[199:200], v[52:53], -v[48:49]
	v_add_f64 v[233:234], v[133:134], -v[74:75]
	v_fma_f64 v[116:117], v[62:63], s[12:13], v[143:144]
	v_add_f64 v[38:39], v[38:39], v[74:75]
	v_fma_f64 v[74:75], v[60:61], s[14:15], v[145:146]
	v_add_f64 v[221:222], v[50:51], -v[54:55]
	v_add_f64 v[225:226], v[131:132], -v[72:73]
	;; [unrolled: 1-line block ×3, first 2 shown]
	v_fma_f64 v[118:119], v[62:63], s[14:15], v[143:144]
	v_add_f64 v[36:37], v[36:37], v[72:73]
	v_fma_f64 v[72:73], v[141:142], s[14:15], v[104:105]
	v_fma_f64 v[143:144], v[60:61], s[12:13], v[145:146]
	;; [unrolled: 1-line block ×5, first 2 shown]
	v_add_f64 v[12:13], v[16:17], v[12:13]
	v_fma_f64 v[16:17], v[70:71], s[12:13], v[155:156]
	v_fma_f64 v[205:206], v[68:69], s[14:15], v[157:158]
	v_fma_f64 v[173:174], v[139:140], s[14:15], v[96:97]
	v_fma_f64 v[207:208], v[153:154], s[12:13], v[98:99]
	v_fma_f64 v[155:156], v[70:71], s[14:15], v[155:156]
	v_fma_f64 v[96:97], v[139:140], s[12:13], v[96:97]
	v_fma_f64 v[98:99], v[153:154], s[14:15], v[98:99]
	v_fma_f64 v[157:158], v[68:69], s[12:13], v[157:158]
	v_add_f64 v[181:182], v[181:182], v[183:184]
	v_add_f64 v[183:184], v[187:188], v[189:190]
	;; [unrolled: 1-line block ×5, first 2 shown]
	v_fma_f64 v[209:210], v[185:186], s[12:13], v[167:168]
	v_fma_f64 v[213:214], v[239:240], s[14:15], v[169:170]
	v_add_f64 v[193:194], v[215:216], v[217:218]
	v_fma_f64 v[211:212], v[165:166], s[14:15], v[4:5]
	v_fma_f64 v[215:216], v[179:180], s[12:13], v[6:7]
	;; [unrolled: 1-line block ×6, first 2 shown]
	v_add_f64 v[48:49], v[20:21], v[48:49]
	v_add_f64 v[50:51], v[24:25], v[50:51]
	;; [unrolled: 1-line block ×6, first 2 shown]
	v_fma_f64 v[10:11], v[137:138], s[4:5], v[66:67]
	v_fma_f64 v[56:57], v[110:111], s[4:5], v[76:77]
	;; [unrolled: 1-line block ×16, first 2 shown]
	v_add_f64 v[189:190], v[197:198], v[199:200]
	v_fma_f64 v[100:101], v[141:142], s[4:5], v[116:117]
	v_fma_f64 v[74:75], v[175:176], s[10:11], v[74:75]
	v_add_f64 v[195:196], v[219:220], v[221:222]
	v_fma_f64 v[108:109], v[62:63], s[4:5], v[72:73]
	v_fma_f64 v[112:113], v[60:61], s[10:11], v[145:146]
	;; [unrolled: 1-line block ×6, first 2 shown]
	v_add_f64 v[197:198], v[223:224], v[225:226]
	v_add_f64 v[201:202], v[231:232], v[233:234]
	;; [unrolled: 1-line block ×3, first 2 shown]
	v_fma_f64 v[16:17], v[139:140], s[4:5], v[16:17]
	v_fma_f64 v[131:132], v[153:154], s[10:11], v[205:206]
	v_add_f64 v[199:200], v[227:228], v[229:230]
	v_fma_f64 v[116:117], v[70:71], s[4:5], v[173:174]
	v_fma_f64 v[137:138], v[68:69], s[10:11], v[207:208]
	;; [unrolled: 1-line block ×5, first 2 shown]
	v_add_f64 v[34:35], v[38:39], v[133:134]
	v_fma_f64 v[133:134], v[153:154], s[4:5], v[157:158]
	v_add_f64 v[36:37], v[18:19], v[40:41]
	v_fma_f64 v[18:19], v[165:166], s[4:5], v[209:210]
	v_fma_f64 v[147:148], v[179:180], s[10:11], v[213:214]
	;; [unrolled: 1-line block ×8, first 2 shown]
	v_add_f64 v[28:29], v[48:49], v[52:53]
	v_fma_f64 v[40:41], v[237:238], s[0:1], v[10:11]
	v_fma_f64 v[48:49], v[42:43], s[0:1], v[56:57]
	;; [unrolled: 1-line block ×4, first 2 shown]
	v_add_f64 v[30:31], v[50:51], v[54:55]
	v_fma_f64 v[50:51], v[163:164], s[0:1], v[76:77]
	v_fma_f64 v[54:55], v[163:164], s[0:1], v[78:79]
	;; [unrolled: 1-line block ×28, first 2 shown]
	v_add_f64 v[38:39], v[12:13], v[8:9]
	v_fma_f64 v[4:5], v[135:136], s[0:1], v[18:19]
	v_fma_f64 v[6:7], v[161:162], s[0:1], v[147:148]
	;; [unrolled: 1-line block ×8, first 2 shown]
	v_or_b32_e32 v104, v241, v130
	v_or_b32_e32 v105, v242, v130
	;; [unrolled: 1-line block ×5, first 2 shown]
	v_lshl_add_u32 v104, v104, 4, 0
	v_lshl_add_u32 v105, v105, 4, 0
	;; [unrolled: 1-line block ×5, first 2 shown]
	ds_store_b128 v104, v[20:23]
	ds_store_b128 v104, v[40:43] offset:128
	ds_store_b128 v104, v[48:51] offset:256
	ds_store_b128 v104, v[52:55] offset:384
	ds_store_b128 v104, v[44:47] offset:512
	ds_store_b128 v105, v[24:27]
	ds_store_b128 v105, v[56:59] offset:128
	ds_store_b128 v105, v[64:67] offset:256
	ds_store_b128 v105, v[68:71] offset:384
	ds_store_b128 v105, v[60:63] offset:512
	;; [unrolled: 5-line block ×5, first 2 shown]
	s_waitcnt lgkmcnt(0)
	s_barrier
	buffer_gl0_inv
	ds_load_b128 v[36:39], v126
	ds_load_b128 v[32:35], v126 offset:896
	ds_load_b128 v[92:95], v126 offset:6400
	;; [unrolled: 1-line block ×20, first 2 shown]
	v_cmp_gt_u32_e64 s0, 32, v120
                                        ; implicit-def: $vgpr26_vgpr27
                                        ; implicit-def: $vgpr22_vgpr23
	s_delay_alu instid0(VALU_DEP_1)
	s_and_saveexec_b32 s1, s0
	s_cbranch_execz .LBB0_33
; %bb.32:
	ds_load_b128 v[4:7], v126 offset:2688
	ds_load_b128 v[8:11], v126 offset:5888
	;; [unrolled: 1-line block ×7, first 2 shown]
.LBB0_33:
	s_or_b32 exec_lo, exec_lo, s1
	v_and_b32_e32 v112, 0xff, v129
	v_subrev_nc_u32_e32 v113, 40, v120
	v_cmp_gt_u32_e64 s1, 40, v120
	v_and_b32_e32 v116, 0xff, v128
	s_mov_b32 s12, 0x37e14327
	s_mov_b32 s4, 0x36b3c0b5
	;; [unrolled: 1-line block ×3, first 2 shown]
	v_cndmask_b32_e64 v114, v113, v120, s1
	v_mov_b32_e32 v113, 0
	v_mul_lo_u16 v112, 0xcd, v112
	v_mul_lo_u16 v118, 0xcd, v116
	s_mov_b32 s13, 0x3fe948f6
	s_mov_b32 s5, 0x3fac98ee
	;; [unrolled: 1-line block ×3, first 2 shown]
	v_lshrrev_b16 v115, 13, v112
	v_mul_i32_i24_e32 v112, 6, v114
	s_mov_b32 s10, 0x429ad128
	s_mov_b32 s11, 0xbfebfeb5
	;; [unrolled: 1-line block ×3, first 2 shown]
	v_mul_lo_u16 v119, v115, 40
	v_lshlrev_b64 v[116:117], 4, v[112:113]
	v_lshrrev_b16 v112, 13, v118
	s_mov_b32 s18, 0x5476071b
	s_mov_b32 s22, 0xb247c609
	v_sub_nc_u16 v130, v129, v119
	s_mov_b32 s15, 0xbff2aaaa
	v_add_co_u32 v118, s1, s8, v116
	s_delay_alu instid0(VALU_DEP_1) | instskip(NEXT) | instid1(VALU_DEP_3)
	v_add_co_ci_u32_e64 v119, s1, s9, v117, s1
	v_and_b32_e32 v116, 0xff, v130
	v_mul_lo_u16 v117, v112, 40
	s_clause 0x3
	global_load_b128 v[130:133], v[118:119], off offset:608
	global_load_b128 v[134:137], v[118:119], off offset:624
	;; [unrolled: 1-line block ×4, first 2 shown]
	v_mul_u32_u24_e32 v146, 6, v116
	v_sub_nc_u16 v117, v128, v117
	s_mov_b32 s19, 0x3fe77f67
	s_mov_b32 s21, 0xbfe77f67
	;; [unrolled: 1-line block ×3, first 2 shown]
	v_lshlrev_b32_e32 v190, 4, v146
	v_and_b32_e32 v117, 0xff, v117
	s_mov_b32 s20, s18
	s_mov_b32 s25, 0x3fd5d0dc
	;; [unrolled: 1-line block ×3, first 2 shown]
	s_clause 0x3
	global_load_b128 v[146:149], v190, s[8:9] offset:608
	global_load_b128 v[150:153], v190, s[8:9] offset:624
	;; [unrolled: 1-line block ×4, first 2 shown]
	v_mul_u32_u24_e32 v162, 6, v117
	s_mov_b32 s26, 0x37c3f68c
	s_mov_b32 s27, 0xbfdc38aa
	v_cmp_lt_u32_e64 s1, 39, v120
	v_and_b32_e32 v115, 0xffff, v115
	v_lshlrev_b32_e32 v198, 4, v162
	s_clause 0x9
	global_load_b128 v[162:165], v[118:119], off offset:640
	global_load_b128 v[166:169], v[118:119], off offset:656
	global_load_b128 v[170:173], v198, s[8:9] offset:608
	global_load_b128 v[174:177], v198, s[8:9] offset:624
	;; [unrolled: 1-line block ×8, first 2 shown]
	v_and_b32_e32 v112, 0xffff, v112
	v_lshlrev_b32_e32 v114, 4, v114
	v_mul_u32_u24_e32 v115, 0x1180, v115
	v_lshlrev_b32_e32 v116, 4, v116
	v_lshlrev_b32_e32 v117, 4, v117
	v_mul_u32_u24_e32 v112, 0x1180, v112
	s_waitcnt vmcnt(0) lgkmcnt(0)
	s_barrier
	v_add3_u32 v115, 0, v115, v116
	buffer_gl0_inv
	v_add3_u32 v112, 0, v112, v117
	v_mul_f64 v[118:119], v[106:107], v[132:133]
	v_mul_f64 v[132:133], v[104:105], v[132:133]
	;; [unrolled: 1-line block ×32, first 2 shown]
	v_fma_f64 v[104:105], v[104:105], v[130:131], v[118:119]
	v_fma_f64 v[106:107], v[106:107], v[130:131], -v[132:133]
	v_fma_f64 v[92:93], v[92:93], v[134:135], v[202:203]
	v_fma_f64 v[94:95], v[94:95], v[134:135], -v[136:137]
	;; [unrolled: 2-line block ×4, first 2 shown]
	v_mul_f64 v[118:119], v[42:43], v[196:197]
	v_mul_f64 v[130:131], v[40:41], v[196:197]
	;; [unrolled: 1-line block ×4, first 2 shown]
	v_fma_f64 v[60:61], v[60:61], v[150:151], v[210:211]
	v_fma_f64 v[88:89], v[88:89], v[146:147], v[208:209]
	v_fma_f64 v[90:91], v[90:91], v[146:147], -v[148:149]
	v_fma_f64 v[62:63], v[62:63], v[150:151], -v[152:153]
	v_fma_f64 v[76:77], v[76:77], v[154:155], v[212:213]
	v_fma_f64 v[78:79], v[78:79], v[154:155], -v[156:157]
	v_fma_f64 v[96:97], v[96:97], v[158:159], v[214:215]
	;; [unrolled: 2-line block ×7, first 2 shown]
	v_fma_f64 v[80:81], v[80:81], v[182:183], v[226:227]
	v_fma_f64 v[82:83], v[82:83], v[182:183], -v[184:185]
	v_fma_f64 v[74:75], v[74:75], v[178:179], -v[180:181]
	v_fma_f64 v[52:53], v[52:53], v[186:187], v[228:229]
	v_fma_f64 v[48:49], v[48:49], v[190:191], v[230:231]
	v_fma_f64 v[54:55], v[54:55], v[186:187], -v[188:189]
	v_fma_f64 v[50:51], v[50:51], v[190:191], -v[192:193]
	v_add_f64 v[136:137], v[104:105], v[100:101]
	v_add_f64 v[138:139], v[106:107], v[102:103]
	v_add_f64 v[140:141], v[92:93], v[108:109]
	v_add_f64 v[142:143], v[94:95], v[110:111]
	v_fma_f64 v[40:41], v[40:41], v[194:195], v[118:119]
	v_fma_f64 v[42:43], v[42:43], v[194:195], -v[130:131]
	v_fma_f64 v[44:45], v[44:45], v[198:199], v[132:133]
	v_fma_f64 v[46:47], v[46:47], v[198:199], -v[134:135]
	v_add_f64 v[92:93], v[92:93], -v[108:109]
	v_add_f64 v[94:95], v[94:95], -v[110:111]
	;; [unrolled: 1-line block ×4, first 2 shown]
	v_add_f64 v[118:119], v[88:89], v[76:77]
	v_add_f64 v[130:131], v[90:91], v[78:79]
	;; [unrolled: 1-line block ×4, first 2 shown]
	v_add_f64 v[60:61], v[60:61], -v[96:97]
	v_add_f64 v[62:63], v[62:63], -v[98:99]
	v_add_f64 v[108:109], v[84:85], v[56:57]
	v_add_f64 v[144:145], v[86:87], v[58:59]
	v_add_f64 v[56:57], v[56:57], -v[84:85]
	v_add_f64 v[58:59], v[58:59], -v[86:87]
	v_add_f64 v[110:111], v[68:69], v[72:73]
	v_add_f64 v[84:85], v[64:65], v[80:81]
	;; [unrolled: 1-line block ×4, first 2 shown]
	v_add_f64 v[68:69], v[68:69], -v[72:73]
	v_add_f64 v[104:105], v[52:53], v[48:49]
	v_add_f64 v[48:49], v[48:49], -v[52:53]
	v_add_f64 v[106:107], v[54:55], v[50:51]
	v_add_f64 v[50:51], v[50:51], -v[54:55]
	v_add_f64 v[54:55], v[88:89], -v[76:77]
	;; [unrolled: 1-line block ×6, first 2 shown]
	v_add_f64 v[52:53], v[140:141], v[136:137]
	v_add_f64 v[96:97], v[142:143], v[138:139]
	v_add_f64 v[80:81], v[142:143], -v[138:139]
	v_add_f64 v[72:73], v[40:41], v[44:45]
	v_add_f64 v[40:41], v[44:45], -v[40:41]
	v_add_f64 v[74:75], v[42:43], v[46:47]
	v_add_f64 v[42:43], v[46:47], -v[42:43]
	v_add_f64 v[46:47], v[140:141], -v[136:137]
	v_add_f64 v[44:45], v[132:133], v[118:119]
	v_add_f64 v[78:79], v[134:135], v[130:131]
	v_add_f64 v[152:153], v[132:133], -v[118:119]
	v_add_f64 v[154:155], v[134:135], -v[130:131]
	;; [unrolled: 1-line block ×8, first 2 shown]
	v_add_f64 v[136:137], v[56:57], v[92:93]
	v_add_f64 v[142:143], v[110:111], v[84:85]
	;; [unrolled: 1-line block ×4, first 2 shown]
	v_add_f64 v[92:93], v[92:93], -v[100:101]
	v_add_f64 v[94:95], v[94:95], -v[102:103]
	;; [unrolled: 1-line block ×4, first 2 shown]
	v_add_f64 v[156:157], v[48:49], v[60:61]
	v_add_f64 v[158:159], v[50:51], -v[62:63]
	v_add_f64 v[132:133], v[104:105], -v[132:133]
	;; [unrolled: 1-line block ×7, first 2 shown]
	v_add_f64 v[52:53], v[108:109], v[52:53]
	v_add_f64 v[96:97], v[144:145], v[96:97]
	v_add_f64 v[144:145], v[48:49], -v[60:61]
	v_add_f64 v[108:109], v[50:51], v[62:63]
	v_add_f64 v[60:61], v[60:61], -v[54:55]
	v_add_f64 v[62:63], v[62:63], -v[76:77]
	v_add_f64 v[164:165], v[40:41], v[68:69]
	v_add_f64 v[84:85], v[84:85], -v[72:73]
	v_add_f64 v[86:87], v[86:87], -v[74:75]
	;; [unrolled: 1-line block ×5, first 2 shown]
	v_add_f64 v[44:45], v[104:105], v[44:45]
	v_add_f64 v[78:79], v[106:107], v[78:79]
	v_add_f64 v[106:107], v[72:73], -v[110:111]
	v_add_f64 v[110:111], v[40:41], -v[68:69]
	v_add_f64 v[104:105], v[42:43], v[70:71]
	v_add_f64 v[68:69], v[68:69], -v[64:65]
	v_add_f64 v[70:71], v[70:71], -v[66:67]
	v_mul_f64 v[82:83], v[82:83], s[12:13]
	v_mul_f64 v[88:89], v[88:89], s[12:13]
	;; [unrolled: 1-line block ×4, first 2 shown]
	v_add_f64 v[72:73], v[72:73], v[142:143]
	v_mul_f64 v[142:143], v[90:91], s[4:5]
	v_add_f64 v[74:75], v[74:75], v[148:149]
	v_mul_f64 v[148:149], v[98:99], s[4:5]
	v_add_f64 v[100:101], v[136:137], v[100:101]
	v_add_f64 v[102:103], v[138:139], v[102:103]
	v_mul_f64 v[136:137], v[92:93], s[10:11]
	v_mul_f64 v[138:139], v[94:95], s[10:11]
	v_add_f64 v[50:51], v[76:77], -v[50:51]
	v_mul_f64 v[118:119], v[118:119], s[12:13]
	v_mul_f64 v[130:131], v[130:131], s[12:13]
	v_add_f64 v[54:55], v[156:157], v[54:55]
	v_mul_f64 v[156:157], v[158:159], s[16:17]
	v_mul_f64 v[168:169], v[132:133], s[4:5]
	;; [unrolled: 1-line block ×3, first 2 shown]
	v_add_f64 v[36:37], v[36:37], v[52:53]
	v_add_f64 v[38:39], v[38:39], v[96:97]
	v_mul_f64 v[144:145], v[144:145], s[16:17]
	v_add_f64 v[76:77], v[108:109], v[76:77]
	v_mul_f64 v[108:109], v[60:61], s[10:11]
	v_mul_f64 v[158:159], v[62:63], s[10:11]
	v_add_f64 v[40:41], v[64:65], -v[40:41]
	v_add_f64 v[42:43], v[66:67], -v[42:43]
	v_add_f64 v[64:65], v[164:165], v[64:65]
	v_mul_f64 v[84:85], v[84:85], s[12:13]
	v_mul_f64 v[86:87], v[86:87], s[12:13]
	;; [unrolled: 1-line block ×3, first 2 shown]
	v_add_f64 v[32:33], v[32:33], v[44:45]
	v_add_f64 v[34:35], v[34:35], v[78:79]
	v_mul_f64 v[166:167], v[146:147], s[4:5]
	v_mul_f64 v[110:111], v[110:111], s[16:17]
	v_add_f64 v[66:67], v[104:105], v[66:67]
	v_mul_f64 v[172:173], v[68:69], s[10:11]
	v_mul_f64 v[174:175], v[70:71], s[10:11]
	;; [unrolled: 1-line block ×3, first 2 shown]
	v_fma_f64 v[90:91], v[90:91], s[4:5], v[82:83]
	v_fma_f64 v[98:99], v[98:99], s[4:5], v[88:89]
	v_fma_f64 v[92:93], v[92:93], s[10:11], -v[140:141]
	v_add_f64 v[28:29], v[28:29], v[72:73]
	v_fma_f64 v[142:143], v[46:47], s[18:19], -v[142:143]
	v_add_f64 v[30:31], v[30:31], v[74:75]
	v_fma_f64 v[148:149], v[80:81], s[18:19], -v[148:149]
	v_fma_f64 v[46:47], v[46:47], s[20:21], -v[82:83]
	v_fma_f64 v[80:81], v[80:81], s[20:21], -v[88:89]
	v_fma_f64 v[82:83], v[56:57], s[22:23], v[140:141]
	v_fma_f64 v[88:89], v[58:59], s[22:23], v[150:151]
	v_fma_f64 v[56:57], v[56:57], s[24:25], -v[136:137]
	v_fma_f64 v[58:59], v[58:59], s[24:25], -v[138:139]
	;; [unrolled: 1-line block ×3, first 2 shown]
	v_fma_f64 v[132:133], v[132:133], s[4:5], v[118:119]
	v_fma_f64 v[134:135], v[134:135], s[4:5], v[130:131]
	;; [unrolled: 1-line block ×3, first 2 shown]
	v_fma_f64 v[118:119], v[152:153], s[20:21], -v[118:119]
	v_fma_f64 v[52:53], v[52:53], s[14:15], v[36:37]
	v_fma_f64 v[96:97], v[96:97], s[14:15], v[38:39]
	;; [unrolled: 1-line block ×3, first 2 shown]
	v_fma_f64 v[136:137], v[152:153], s[18:19], -v[168:169]
	v_fma_f64 v[48:49], v[48:49], s[24:25], -v[108:109]
	;; [unrolled: 1-line block ×7, first 2 shown]
	v_fma_f64 v[106:107], v[106:107], s[4:5], v[84:85]
	v_fma_f64 v[130:131], v[146:147], s[4:5], v[86:87]
	;; [unrolled: 1-line block ×6, first 2 shown]
	v_fma_f64 v[84:85], v[160:161], s[20:21], -v[84:85]
	v_fma_f64 v[40:41], v[40:41], s[24:25], -v[172:173]
	;; [unrolled: 1-line block ×7, first 2 shown]
	v_fma_f64 v[72:73], v[72:73], s[14:15], v[28:29]
	v_fma_f64 v[110:111], v[162:163], s[18:19], -v[166:167]
	v_fma_f64 v[74:75], v[74:75], s[14:15], v[30:31]
	v_fma_f64 v[92:93], v[100:101], s[26:27], v[92:93]
	v_fma_f64 v[82:83], v[100:101], s[26:27], v[82:83]
	v_fma_f64 v[88:89], v[102:103], s[26:27], v[88:89]
	v_fma_f64 v[100:101], v[100:101], s[26:27], v[56:57]
	v_fma_f64 v[56:57], v[102:103], s[26:27], v[58:59]
	v_fma_f64 v[94:95], v[102:103], s[26:27], v[94:95]
	v_add_f64 v[90:91], v[90:91], v[52:53]
	v_add_f64 v[98:99], v[98:99], v[96:97]
	;; [unrolled: 1-line block ×6, first 2 shown]
	v_fma_f64 v[102:103], v[54:55], s[26:27], v[140:141]
	v_fma_f64 v[140:141], v[76:77], s[26:27], v[150:151]
	;; [unrolled: 1-line block ×6, first 2 shown]
	v_add_f64 v[132:133], v[132:133], v[44:45]
	v_add_f64 v[134:135], v[134:135], v[78:79]
	;; [unrolled: 1-line block ×6, first 2 shown]
	v_fma_f64 v[136:137], v[64:65], s[26:27], v[144:145]
	v_fma_f64 v[138:139], v[66:67], s[26:27], v[146:147]
	;; [unrolled: 1-line block ×5, first 2 shown]
	v_add_f64 v[158:159], v[106:107], v[72:73]
	v_add_f64 v[106:107], v[84:85], v[72:73]
	;; [unrolled: 1-line block ×4, first 2 shown]
	v_fma_f64 v[146:147], v[66:67], s[26:27], v[70:71]
	v_add_f64 v[104:105], v[104:105], v[72:73]
	v_add_f64 v[110:111], v[110:111], v[74:75]
	;; [unrolled: 1-line block ×3, first 2 shown]
	v_add_f64 v[42:43], v[98:99], -v[82:83]
	v_add_f64 v[44:45], v[56:57], v[58:59]
	v_add_f64 v[46:47], v[80:81], -v[100:101]
	v_add_f64 v[48:49], v[52:53], -v[94:95]
	v_add_f64 v[50:51], v[92:93], v[96:97]
	v_add_f64 v[52:53], v[94:95], v[52:53]
	v_add_f64 v[54:55], v[96:97], -v[92:93]
	v_add_f64 v[56:57], v[58:59], -v[56:57]
	v_add_f64 v[58:59], v[100:101], v[80:81]
	v_add_f64 v[60:61], v[90:91], -v[88:89]
	v_add_f64 v[62:63], v[82:83], v[98:99]
	v_add_f64 v[64:65], v[140:141], v[132:133]
	v_add_f64 v[66:67], v[134:135], -v[102:103]
	v_add_f64 v[68:69], v[152:153], v[118:119]
	v_add_f64 v[70:71], v[108:109], -v[150:151]
	v_add_f64 v[72:73], v[76:77], -v[148:149]
	v_add_f64 v[74:75], v[142:143], v[78:79]
	v_add_f64 v[76:77], v[148:149], v[76:77]
	v_add_f64 v[78:79], v[78:79], -v[142:143]
	v_add_f64 v[80:81], v[118:119], -v[152:153]
	v_add_f64 v[82:83], v[150:151], v[108:109]
	v_add_f64 v[84:85], v[132:133], -v[140:141]
	v_add_f64 v[86:87], v[102:103], v[134:135]
	v_add_f64 v[88:89], v[138:139], v[158:159]
	v_add_f64 v[90:91], v[130:131], -v[136:137]
	v_add_f64 v[92:93], v[156:157], v[106:107]
	v_add_f64 v[94:95], v[160:161], -v[154:155]
	v_add_f64 v[96:97], v[104:105], -v[146:147]
	v_add_f64 v[98:99], v[144:145], v[110:111]
	v_add_f64 v[100:101], v[146:147], v[104:105]
	v_add_f64 v[102:103], v[110:111], -v[144:145]
	v_add_f64 v[104:105], v[106:107], -v[156:157]
	v_add_f64 v[106:107], v[154:155], v[160:161]
	v_add_f64 v[108:109], v[158:159], -v[138:139]
	v_add_f64 v[110:111], v[136:137], v[130:131]
	v_cndmask_b32_e64 v118, 0, 0x1180, s1
	s_delay_alu instid0(VALU_DEP_1)
	v_add3_u32 v114, 0, v118, v114
	ds_store_b128 v114, v[36:39]
	ds_store_b128 v114, v[40:43] offset:640
	ds_store_b128 v114, v[44:47] offset:1280
	ds_store_b128 v114, v[48:51] offset:1920
	ds_store_b128 v114, v[52:55] offset:2560
	ds_store_b128 v114, v[56:59] offset:3200
	ds_store_b128 v114, v[60:63] offset:3840
	ds_store_b128 v115, v[32:35]
	ds_store_b128 v115, v[64:67] offset:640
	ds_store_b128 v115, v[68:71] offset:1280
	ds_store_b128 v115, v[72:75] offset:1920
	ds_store_b128 v115, v[76:79] offset:2560
	ds_store_b128 v115, v[80:83] offset:3200
	ds_store_b128 v115, v[84:87] offset:3840
	;; [unrolled: 7-line block ×3, first 2 shown]
	s_and_saveexec_b32 s1, s0
	s_cbranch_execz .LBB0_35
; %bb.34:
	v_and_b32_e32 v28, 0xff, v127
	s_delay_alu instid0(VALU_DEP_1) | instskip(NEXT) | instid1(VALU_DEP_1)
	v_mul_lo_u16 v28, 0xcd, v28
	v_lshrrev_b16 v28, 13, v28
	s_delay_alu instid0(VALU_DEP_1) | instskip(NEXT) | instid1(VALU_DEP_1)
	v_mul_lo_u16 v28, v28, 40
	v_sub_nc_u16 v28, v127, v28
	s_delay_alu instid0(VALU_DEP_1) | instskip(NEXT) | instid1(VALU_DEP_1)
	v_and_b32_e32 v64, 0xff, v28
	v_mul_u32_u24_e32 v28, 6, v64
	s_delay_alu instid0(VALU_DEP_1)
	v_lshlrev_b32_e32 v48, 4, v28
	s_clause 0x5
	global_load_b128 v[28:31], v48, s[8:9] offset:624
	global_load_b128 v[32:35], v48, s[8:9] offset:672
	global_load_b128 v[36:39], v48, s[8:9] offset:608
	global_load_b128 v[40:43], v48, s[8:9] offset:688
	global_load_b128 v[44:47], v48, s[8:9] offset:656
	global_load_b128 v[48:51], v48, s[8:9] offset:640
	s_waitcnt vmcnt(5)
	v_mul_f64 v[52:53], v[12:13], v[30:31]
	s_waitcnt vmcnt(4)
	v_mul_f64 v[54:55], v[20:21], v[34:35]
	;; [unrolled: 2-line block ×4, first 2 shown]
	v_mul_f64 v[30:31], v[14:15], v[30:31]
	v_mul_f64 v[34:35], v[22:23], v[34:35]
	;; [unrolled: 1-line block ×4, first 2 shown]
	s_waitcnt vmcnt(1)
	v_mul_f64 v[60:61], v[2:3], v[46:47]
	s_waitcnt vmcnt(0)
	v_mul_f64 v[62:63], v[18:19], v[50:51]
	v_mul_f64 v[50:51], v[16:17], v[50:51]
	;; [unrolled: 1-line block ×3, first 2 shown]
	v_fma_f64 v[14:15], v[14:15], v[28:29], -v[52:53]
	v_fma_f64 v[22:23], v[22:23], v[32:33], -v[54:55]
	v_fma_f64 v[10:11], v[10:11], v[36:37], -v[56:57]
	v_fma_f64 v[26:27], v[26:27], v[40:41], -v[58:59]
	v_fma_f64 v[12:13], v[12:13], v[28:29], v[30:31]
	v_fma_f64 v[20:21], v[20:21], v[32:33], v[34:35]
	;; [unrolled: 1-line block ×6, first 2 shown]
	v_fma_f64 v[18:19], v[18:19], v[48:49], -v[50:51]
	v_fma_f64 v[2:3], v[2:3], v[44:45], -v[46:47]
	v_add_f64 v[28:29], v[14:15], v[22:23]
	v_add_f64 v[14:15], v[14:15], -v[22:23]
	v_add_f64 v[30:31], v[10:11], v[26:27]
	v_add_f64 v[10:11], v[10:11], -v[26:27]
	;; [unrolled: 2-line block ×4, first 2 shown]
	v_add_f64 v[36:37], v[0:1], -v[16:17]
	v_add_f64 v[0:1], v[16:17], v[0:1]
	v_add_f64 v[20:21], v[18:19], v[2:3]
	v_add_f64 v[2:3], v[2:3], -v[18:19]
	v_add_f64 v[16:17], v[28:29], v[30:31]
	v_add_f64 v[42:43], v[14:15], -v[10:11]
	;; [unrolled: 2-line block ×3, first 2 shown]
	v_add_f64 v[22:23], v[36:37], -v[12:13]
	v_add_f64 v[26:27], v[34:35], -v[0:1]
	;; [unrolled: 1-line block ×5, first 2 shown]
	v_add_f64 v[12:13], v[36:37], v[12:13]
	v_add_f64 v[36:37], v[8:9], -v[36:37]
	v_add_f64 v[14:15], v[2:3], v[14:15]
	v_add_f64 v[48:49], v[10:11], -v[2:3]
	v_add_f64 v[16:17], v[20:21], v[16:17]
	v_add_f64 v[20:21], v[20:21], -v[28:29]
	v_add_f64 v[18:19], v[0:1], v[18:19]
	v_mul_f64 v[46:47], v[38:39], s[10:11]
	v_mul_f64 v[22:23], v[22:23], s[16:17]
	;; [unrolled: 1-line block ×4, first 2 shown]
	v_add_f64 v[8:9], v[12:13], v[8:9]
	v_add_f64 v[10:11], v[14:15], v[10:11]
	;; [unrolled: 1-line block ×3, first 2 shown]
	v_add_f64 v[6:7], v[28:29], -v[30:31]
	v_mul_f64 v[28:29], v[20:21], s[4:5]
	v_mul_f64 v[30:31], v[40:41], s[16:17]
	v_add_f64 v[0:1], v[4:5], v[18:19]
	v_mul_f64 v[40:41], v[42:43], s[10:11]
	v_add_f64 v[4:5], v[32:33], -v[34:35]
	v_mul_f64 v[32:33], v[44:45], s[4:5]
	v_fma_f64 v[12:13], v[36:37], s[22:23], v[22:23]
	v_fma_f64 v[14:15], v[20:21], s[4:5], v[24:25]
	;; [unrolled: 1-line block ×3, first 2 shown]
	v_fma_f64 v[34:35], v[36:37], s[24:25], -v[46:47]
	v_fma_f64 v[22:23], v[38:39], s[10:11], -v[22:23]
	v_fma_f64 v[16:17], v[16:17], s[14:15], v[2:3]
	v_fma_f64 v[24:25], v[6:7], s[20:21], -v[24:25]
	v_fma_f64 v[6:7], v[6:7], s[18:19], -v[28:29]
	v_fma_f64 v[28:29], v[48:49], s[22:23], v[30:31]
	v_fma_f64 v[18:19], v[18:19], s[14:15], v[0:1]
	v_fma_f64 v[36:37], v[48:49], s[24:25], -v[40:41]
	v_fma_f64 v[26:27], v[4:5], s[20:21], -v[26:27]
	v_fma_f64 v[30:31], v[42:43], s[10:11], -v[30:31]
	v_fma_f64 v[4:5], v[4:5], s[18:19], -v[32:33]
	v_fma_f64 v[12:13], v[8:9], s[26:27], v[12:13]
	v_fma_f64 v[32:33], v[8:9], s[26:27], v[34:35]
	;; [unrolled: 1-line block ×3, first 2 shown]
	v_add_f64 v[34:35], v[14:15], v[16:17]
	v_add_f64 v[22:23], v[24:25], v[16:17]
	;; [unrolled: 1-line block ×3, first 2 shown]
	v_fma_f64 v[28:29], v[10:11], s[26:27], v[28:29]
	v_add_f64 v[38:39], v[20:21], v[18:19]
	v_fma_f64 v[36:37], v[10:11], s[26:27], v[36:37]
	v_add_f64 v[40:41], v[26:27], v[18:19]
	;; [unrolled: 2-line block ×3, first 2 shown]
	v_add_f64 v[26:27], v[34:35], -v[12:13]
	v_add_f64 v[10:11], v[32:33], v[22:23]
	v_add_f64 v[22:23], v[22:23], -v[32:33]
	v_add_f64 v[14:15], v[16:17], -v[8:9]
	v_add_f64 v[24:25], v[28:29], v[38:39]
	v_add_f64 v[18:19], v[8:9], v[16:17]
	;; [unrolled: 1-line block ×4, first 2 shown]
	v_add_f64 v[16:17], v[4:5], -v[30:31]
	v_add_f64 v[12:13], v[30:31], v[4:5]
	v_add_f64 v[8:9], v[40:41], -v[36:37]
	v_add_f64 v[4:5], v[38:39], -v[28:29]
	v_lshl_add_u32 v28, v64, 4, 0
	ds_store_b128 v28, v[0:3] offset:17920
	ds_store_b128 v28, v[24:27] offset:18560
	ds_store_b128 v28, v[20:23] offset:19200
	ds_store_b128 v28, v[16:19] offset:19840
	ds_store_b128 v28, v[12:15] offset:20480
	ds_store_b128 v28, v[8:11] offset:21120
	ds_store_b128 v28, v[4:7] offset:21760
.LBB0_35:
	s_or_b32 exec_lo, exec_lo, s1
	v_lshlrev_b32_e32 v112, 2, v120
	s_waitcnt lgkmcnt(0)
	s_barrier
	buffer_gl0_inv
	s_mov_b32 s13, 0x3fee6f0e
	v_lshlrev_b64 v[0:1], 4, v[112:113]
	v_lshlrev_b32_e32 v112, 2, v129
	s_mov_b32 s11, 0x3fe2cf23
	s_mov_b32 s4, 0x372fe950
	;; [unrolled: 1-line block ×3, first 2 shown]
	s_delay_alu instid0(VALU_DEP_2) | instskip(NEXT) | instid1(VALU_DEP_1)
	v_add_co_u32 v4, s0, s8, v0
	v_add_co_ci_u32_e64 v5, s0, s9, v1, s0
	v_lshlrev_b64 v[0:1], 4, v[112:113]
	s_delay_alu instid0(VALU_DEP_3) | instskip(NEXT) | instid1(VALU_DEP_1)
	v_add_co_u32 v2, s0, 0x1160, v4
	v_add_co_ci_u32_e64 v3, s0, 0, v5, s0
	v_add_co_u32 v4, s0, 0x1000, v4
	s_delay_alu instid0(VALU_DEP_1) | instskip(SKIP_1) | instid1(VALU_DEP_1)
	v_add_co_ci_u32_e64 v5, s0, 0, v5, s0
	v_add_co_u32 v6, s0, s8, v0
	v_add_co_ci_u32_e64 v7, s0, s9, v1, s0
	v_lshlrev_b32_e32 v112, 2, v128
	s_delay_alu instid0(VALU_DEP_3) | instskip(NEXT) | instid1(VALU_DEP_1)
	v_add_co_u32 v0, s0, 0x1000, v6
	v_add_co_ci_u32_e64 v1, s0, 0, v7, s0
	s_clause 0x1
	global_load_b128 v[20:23], v[4:5], off offset:352
	global_load_b128 v[24:27], v[2:3], off offset:48
	v_add_co_u32 v4, s0, 0x1160, v6
	s_clause 0x1
	global_load_b128 v[30:33], v[2:3], off offset:32
	global_load_b128 v[34:37], v[2:3], off offset:16
	v_lshlrev_b64 v[2:3], 4, v[112:113]
	v_add_co_ci_u32_e64 v5, s0, 0, v7, s0
	v_lshlrev_b32_e32 v112, 2, v127
	s_clause 0x3
	global_load_b128 v[40:43], v[0:1], off offset:352
	global_load_b128 v[44:47], v[4:5], off offset:48
	;; [unrolled: 1-line block ×4, first 2 shown]
	v_add_co_u32 v4, s0, s8, v2
	s_delay_alu instid0(VALU_DEP_1) | instskip(SKIP_1) | instid1(VALU_DEP_3)
	v_add_co_ci_u32_e64 v5, s0, s9, v3, s0
	v_lshlrev_b64 v[0:1], 4, v[112:113]
	v_add_co_u32 v2, s0, 0x1160, v4
	s_delay_alu instid0(VALU_DEP_1) | instskip(SKIP_1) | instid1(VALU_DEP_4)
	v_add_co_ci_u32_e64 v3, s0, 0, v5, s0
	v_lshlrev_b32_e32 v112, 2, v121
	v_add_co_u32 v6, s0, s8, v0
	s_delay_alu instid0(VALU_DEP_1) | instskip(SKIP_1) | instid1(VALU_DEP_1)
	v_add_co_ci_u32_e64 v7, s0, s9, v1, s0
	v_add_co_u32 v0, s0, 0x1000, v4
	v_add_co_ci_u32_e64 v1, s0, 0, v5, s0
	s_delay_alu instid0(VALU_DEP_4) | instskip(SKIP_3) | instid1(VALU_DEP_1)
	v_add_co_u32 v4, s0, 0x1160, v6
	v_lshlrev_b64 v[8:9], 4, v[112:113]
	v_add_co_ci_u32_e64 v5, s0, 0, v7, s0
	v_add_co_u32 v6, s0, 0x1000, v6
	v_add_co_ci_u32_e64 v7, s0, 0, v7, s0
	s_clause 0x5
	global_load_b128 v[56:59], v[2:3], off offset:32
	global_load_b128 v[60:63], v[2:3], off offset:16
	global_load_b128 v[64:67], v[0:1], off offset:352
	global_load_b128 v[68:71], v[2:3], off offset:48
	global_load_b128 v[72:75], v[6:7], off offset:352
	global_load_b128 v[76:79], v[4:5], off offset:48
	v_add_co_u32 v2, s0, s8, v8
	s_delay_alu instid0(VALU_DEP_1) | instskip(SKIP_4) | instid1(VALU_DEP_1)
	v_add_co_ci_u32_e64 v3, s0, s9, v9, s0
	s_clause 0x1
	global_load_b128 v[80:83], v[4:5], off offset:32
	global_load_b128 v[84:87], v[4:5], off offset:16
	v_add_co_u32 v0, s0, 0x1000, v2
	v_add_co_ci_u32_e64 v1, s0, 0, v3, s0
	v_add_co_u32 v2, s0, 0x1160, v2
	s_delay_alu instid0(VALU_DEP_1)
	v_add_co_ci_u32_e64 v3, s0, 0, v3, s0
	s_clause 0x3
	global_load_b128 v[88:91], v[0:1], off offset:352
	global_load_b128 v[92:95], v[2:3], off offset:16
	;; [unrolled: 1-line block ×4, first 2 shown]
	ds_load_b128 v[104:107], v126 offset:4480
	ds_load_b128 v[108:111], v126 offset:13440
	ds_load_b128 v[16:19], v126
	ds_load_b128 v[12:15], v126 offset:896
	ds_load_b128 v[112:115], v126 offset:8960
	;; [unrolled: 1-line block ×22, first 2 shown]
	s_mov_b32 s8, 0x134454ff
	s_mov_b32 s9, 0xbfee6f0e
	;; [unrolled: 1-line block ×6, first 2 shown]
	s_waitcnt vmcnt(0) lgkmcnt(0)
	s_barrier
	buffer_gl0_inv
	v_mul_f64 v[28:29], v[106:107], v[22:23]
	v_mul_f64 v[22:23], v[104:105], v[22:23]
	;; [unrolled: 1-line block ×32, first 2 shown]
	v_fma_f64 v[104:105], v[104:105], v[20:21], v[28:29]
	v_fma_f64 v[106:107], v[106:107], v[20:21], -v[22:23]
	v_mul_f64 v[219:220], v[173:174], v[90:91]
	v_mul_f64 v[90:91], v[171:172], v[90:91]
	v_mul_f64 v[20:21], v[177:178], v[94:95]
	v_mul_f64 v[94:95], v[175:176], v[94:95]
	v_mul_f64 v[221:222], v[185:186], v[98:99]
	v_mul_f64 v[98:99], v[183:184], v[98:99]
	v_fma_f64 v[112:113], v[112:113], v[34:35], v[38:39]
	v_fma_f64 v[114:115], v[114:115], v[34:35], -v[36:37]
	v_mul_f64 v[223:224], v[189:190], v[102:103]
	v_mul_f64 v[102:103], v[187:188], v[102:103]
	v_fma_f64 v[108:109], v[108:109], v[30:31], v[191:192]
	v_fma_f64 v[28:29], v[129:130], v[24:25], -v[26:27]
	v_fma_f64 v[110:111], v[110:111], v[30:31], -v[32:33]
	v_fma_f64 v[38:39], v[127:128], v[24:25], v[193:194]
	v_fma_f64 v[127:128], v[135:136], v[40:41], v[195:196]
	v_fma_f64 v[40:41], v[137:138], v[40:41], -v[42:43]
	v_fma_f64 v[42:43], v[116:117], v[52:53], v[197:198]
	v_fma_f64 v[52:53], v[118:119], v[52:53], -v[54:55]
	;; [unrolled: 2-line block ×15, first 2 shown]
	v_add_f64 v[86:87], v[16:17], v[104:105]
	v_add_f64 v[94:95], v[104:105], -v[112:113]
	v_fma_f64 v[26:27], v[187:188], v[100:101], v[223:224]
	v_fma_f64 v[20:21], v[189:190], v[100:101], -v[102:103]
	v_add_f64 v[88:89], v[112:113], v[108:109]
	v_add_f64 v[135:136], v[106:107], v[28:29]
	v_add_f64 v[118:119], v[114:115], v[110:111]
	v_add_f64 v[98:99], v[104:105], v[38:39]
	v_add_f64 v[96:97], v[38:39], -v[108:109]
	v_add_f64 v[116:117], v[18:19], v[106:107]
	v_add_f64 v[90:91], v[106:107], -v[28:29]
	v_add_f64 v[131:132], v[106:107], -v[114:115]
	;; [unrolled: 1-line block ×5, first 2 shown]
	v_add_f64 v[139:140], v[12:13], v[127:128]
	v_add_f64 v[141:142], v[42:43], v[54:55]
	v_add_f64 v[151:152], v[127:128], v[36:37]
	v_add_f64 v[159:160], v[52:53], v[48:49]
	v_add_f64 v[167:168], v[40:41], v[30:31]
	v_add_f64 v[157:158], v[14:15], v[40:41]
	v_add_f64 v[143:144], v[40:41], -v[30:31]
	v_add_f64 v[147:148], v[127:128], -v[42:43]
	;; [unrolled: 1-line block ×8, first 2 shown]
	v_add_f64 v[171:172], v[8:9], v[44:45]
	v_add_f64 v[173:174], v[50:51], v[62:63]
	v_add_f64 v[189:190], v[10:11], v[46:47]
	v_add_f64 v[191:192], v[60:61], v[56:57]
	v_add_f64 v[183:184], v[44:45], v[34:35]
	v_add_f64 v[199:200], v[46:47], v[24:25]
	v_add_f64 v[175:176], v[46:47], -v[24:25]
	v_add_f64 v[195:196], v[46:47], -v[60:61]
	;; [unrolled: 1-line block ×4, first 2 shown]
	v_add_f64 v[203:204], v[4:5], v[58:59]
	v_add_f64 v[205:206], v[66:67], v[70:71]
	;; [unrolled: 1-line block ×6, first 2 shown]
	v_add_f64 v[100:101], v[112:113], -v[104:105]
	v_add_f64 v[102:103], v[108:109], -v[38:39]
	;; [unrolled: 1-line block ×8, first 2 shown]
	v_add_f64 v[235:236], v[0:1], v[74:75]
	v_add_f64 v[237:238], v[78:79], v[82:83]
	;; [unrolled: 1-line block ×5, first 2 shown]
	v_fma_f64 v[88:89], v[88:89], -0.5, v[16:17]
	v_fma_f64 v[16:17], v[98:99], -0.5, v[16:17]
	;; [unrolled: 1-line block ×4, first 2 shown]
	v_add_f64 v[135:136], v[76:77], v[20:21]
	v_add_f64 v[92:93], v[114:115], -v[110:111]
	v_add_f64 v[104:105], v[104:105], -v[38:39]
	;; [unrolled: 1-line block ×3, first 2 shown]
	v_add_f64 v[86:87], v[86:87], v[112:113]
	v_add_f64 v[112:113], v[80:81], -v[76:77]
	v_add_f64 v[94:95], v[94:95], v[96:97]
	v_add_f64 v[96:97], v[84:85], -v[20:21]
	;; [unrolled: 2-line block ×3, first 2 shown]
	v_add_f64 v[161:162], v[42:43], -v[54:55]
	v_add_f64 v[185:186], v[50:51], -v[44:45]
	;; [unrolled: 1-line block ×3, first 2 shown]
	v_add_f64 v[131:132], v[131:132], v[133:134]
	v_add_f64 v[106:107], v[106:107], v[137:138]
	v_fma_f64 v[133:134], v[141:142], -0.5, v[12:13]
	v_fma_f64 v[12:13], v[151:152], -0.5, v[12:13]
	;; [unrolled: 1-line block ×4, first 2 shown]
	v_add_f64 v[42:43], v[139:140], v[42:43]
	v_add_f64 v[127:128], v[127:128], -v[36:37]
	v_add_f64 v[52:53], v[157:158], v[52:53]
	v_add_f64 v[177:178], v[60:61], -v[56:57]
	v_add_f64 v[44:45], v[44:45], -v[34:35]
	;; [unrolled: 1-line block ×3, first 2 shown]
	v_add_f64 v[139:140], v[147:148], v[149:150]
	v_add_f64 v[141:142], v[153:154], v[155:156]
	;; [unrolled: 1-line block ×4, first 2 shown]
	v_fma_f64 v[50:51], v[173:174], -0.5, v[8:9]
	v_add_f64 v[60:61], v[189:190], v[60:61]
	v_fma_f64 v[155:156], v[191:192], -0.5, v[10:11]
	v_add_f64 v[197:198], v[24:25], -v[56:57]
	v_fma_f64 v[8:9], v[183:184], -0.5, v[8:9]
	v_fma_f64 v[10:11], v[199:200], -0.5, v[10:11]
	v_add_f64 v[209:210], v[68:69], -v[72:73]
	v_add_f64 v[211:212], v[58:59], -v[66:67]
	v_add_f64 v[217:218], v[66:67], -v[58:59]
	v_add_f64 v[225:226], v[66:67], -v[70:71]
	v_add_f64 v[159:160], v[46:47], v[201:202]
	v_add_f64 v[46:47], v[203:204], v[66:67]
	v_fma_f64 v[66:67], v[205:206], -0.5, v[4:5]
	v_fma_f64 v[4:5], v[215:216], -0.5, v[4:5]
	;; [unrolled: 1-line block ×4, first 2 shown]
	v_add_f64 v[58:59], v[58:59], -v[32:33]
	v_add_f64 v[68:69], v[221:222], v[68:69]
	v_add_f64 v[239:240], v[74:75], -v[78:79]
	v_add_f64 v[245:246], v[78:79], -v[74:75]
	;; [unrolled: 1-line block ×4, first 2 shown]
	v_add_f64 v[100:101], v[100:101], v[102:103]
	v_add_f64 v[102:103], v[80:81], -v[84:85]
	v_add_f64 v[74:75], v[74:75], -v[26:27]
	;; [unrolled: 1-line block ×3, first 2 shown]
	v_add_f64 v[151:152], v[179:180], v[181:182]
	v_add_f64 v[171:172], v[64:65], v[233:234]
	;; [unrolled: 1-line block ×3, first 2 shown]
	v_fma_f64 v[78:79], v[237:238], -0.5, v[0:1]
	v_add_f64 v[80:81], v[249:250], v[80:81]
	v_fma_f64 v[181:182], v[251:252], -0.5, v[2:3]
	v_add_f64 v[165:166], v[30:31], -v[48:49]
	v_add_f64 v[213:214], v[32:33], -v[70:71]
	v_fma_f64 v[0:1], v[243:244], -0.5, v[0:1]
	v_fma_f64 v[2:3], v[135:136], -0.5, v[2:3]
	v_add_f64 v[112:113], v[112:113], v[96:97]
	v_add_f64 v[86:87], v[86:87], v[108:109]
	v_fma_f64 v[96:97], v[90:91], s[8:9], v[88:89]
	v_fma_f64 v[88:89], v[90:91], s[12:13], v[88:89]
	v_add_f64 v[110:111], v[114:115], v[110:111]
	v_fma_f64 v[114:115], v[104:105], s[12:13], v[98:99]
	v_fma_f64 v[108:109], v[92:93], s[12:13], v[16:17]
	;; [unrolled: 1-line block ×4, first 2 shown]
	v_add_f64 v[153:154], v[185:186], v[187:188]
	v_add_f64 v[42:43], v[42:43], v[54:55]
	v_fma_f64 v[54:55], v[143:144], s[8:9], v[133:134]
	v_fma_f64 v[183:184], v[145:146], s[12:13], v[12:13]
	;; [unrolled: 1-line block ×4, first 2 shown]
	v_add_f64 v[48:49], v[52:53], v[48:49]
	v_fma_f64 v[52:53], v[127:128], s[12:13], v[137:138]
	v_fma_f64 v[137:138], v[127:128], s[8:9], v[137:138]
	v_add_f64 v[40:41], v[40:41], v[62:63]
	v_fma_f64 v[62:63], v[175:176], s[8:9], v[50:51]
	v_add_f64 v[56:57], v[60:61], v[56:57]
	v_fma_f64 v[60:61], v[44:45], s[12:13], v[155:156]
	v_fma_f64 v[12:13], v[145:146], s[8:9], v[12:13]
	;; [unrolled: 1-line block ×3, first 2 shown]
	v_add_f64 v[157:158], v[195:196], v[197:198]
	v_fma_f64 v[189:190], v[177:178], s[8:9], v[8:9]
	v_fma_f64 v[155:156], v[44:45], s[8:9], v[155:156]
	;; [unrolled: 1-line block ×5, first 2 shown]
	v_add_f64 v[219:220], v[70:71], -v[32:33]
	v_fma_f64 v[197:198], v[209:210], s[12:13], v[4:5]
	v_fma_f64 v[201:202], v[225:226], s[8:9], v[6:7]
	;; [unrolled: 1-line block ×3, first 2 shown]
	v_add_f64 v[229:230], v[22:23], -v[72:73]
	v_add_f64 v[46:47], v[46:47], v[70:71]
	v_fma_f64 v[70:71], v[207:208], s[8:9], v[66:67]
	v_fma_f64 v[66:67], v[207:208], s[12:13], v[66:67]
	v_add_f64 v[68:69], v[68:69], v[72:73]
	v_fma_f64 v[72:73], v[58:59], s[12:13], v[167:168]
	v_fma_f64 v[167:168], v[58:59], s[8:9], v[167:168]
	v_add_f64 v[241:242], v[26:27], -v[82:83]
	v_add_f64 v[247:248], v[82:83], -v[26:27]
	;; [unrolled: 1-line block ×3, first 2 shown]
	v_add_f64 v[64:65], v[64:65], v[82:83]
	v_fma_f64 v[82:83], v[76:77], s[8:9], v[78:79]
	v_add_f64 v[80:81], v[80:81], v[84:85]
	v_fma_f64 v[84:85], v[74:75], s[12:13], v[181:182]
	v_fma_f64 v[16:17], v[92:93], s[8:9], v[16:17]
	;; [unrolled: 1-line block ×3, first 2 shown]
	v_add_f64 v[147:148], v[163:164], v[165:166]
	v_add_f64 v[163:164], v[211:212], v[213:214]
	v_fma_f64 v[205:206], v[102:103], s[12:13], v[0:1]
	v_fma_f64 v[181:182], v[74:75], s[8:9], v[181:182]
	;; [unrolled: 1-line block ×8, first 2 shown]
	v_add_f64 v[0:1], v[86:87], v[38:39]
	v_fma_f64 v[38:39], v[92:93], s[0:1], v[96:97]
	v_fma_f64 v[86:87], v[92:93], s[10:11], v[88:89]
	v_fma_f64 v[92:93], v[129:130], s[10:11], v[114:115]
	v_fma_f64 v[88:89], v[90:91], s[0:1], v[108:109]
	v_fma_f64 v[96:97], v[129:130], s[0:1], v[98:99]
	v_fma_f64 v[98:99], v[104:105], s[10:11], v[135:136]
	v_add_f64 v[4:5], v[42:43], v[36:37]
	v_fma_f64 v[36:37], v[145:146], s[0:1], v[54:55]
	v_fma_f64 v[54:55], v[143:144], s[0:1], v[183:184]
	;; [unrolled: 1-line block ×3, first 2 shown]
	v_add_f64 v[2:3], v[110:111], v[28:29]
	v_fma_f64 v[42:43], v[145:146], s[10:11], v[133:134]
	v_fma_f64 v[110:111], v[161:162], s[0:1], v[137:138]
	;; [unrolled: 1-line block ×12, first 2 shown]
	v_add_f64 v[165:166], v[217:218], v[219:220]
	v_fma_f64 v[175:176], v[207:208], s[0:1], v[197:198]
	v_fma_f64 v[185:186], v[58:59], s[10:11], v[201:202]
	;; [unrolled: 1-line block ×3, first 2 shown]
	v_add_f64 v[169:170], v[227:228], v[229:230]
	v_fma_f64 v[161:162], v[209:210], s[10:11], v[66:67]
	v_fma_f64 v[167:168], v[225:226], s[0:1], v[167:168]
	;; [unrolled: 1-line block ×4, first 2 shown]
	v_add_f64 v[173:174], v[239:240], v[241:242]
	v_add_f64 v[118:119], v[253:254], v[118:119]
	v_fma_f64 v[189:190], v[102:103], s[0:1], v[82:83]
	v_fma_f64 v[195:196], v[116:117], s[10:11], v[84:85]
	;; [unrolled: 1-line block ×4, first 2 shown]
	v_add_f64 v[179:180], v[245:246], v[247:248]
	v_fma_f64 v[191:192], v[76:77], s[0:1], v[205:206]
	v_fma_f64 v[116:117], v[116:117], s[0:1], v[181:182]
	v_fma_f64 v[181:182], v[74:75], s[10:11], v[213:214]
	v_fma_f64 v[177:178], v[207:208], s[10:11], v[199:200]
	v_fma_f64 v[187:188], v[58:59], s[0:1], v[203:204]
	v_fma_f64 v[193:194], v[76:77], s[10:11], v[211:212]
	v_fma_f64 v[197:198], v[74:75], s[0:1], v[215:216]
	v_fma_f64 v[102:103], v[102:103], s[10:11], v[78:79]
	v_add_f64 v[6:7], v[48:49], v[30:31]
	v_add_f64 v[8:9], v[40:41], v[34:35]
	;; [unrolled: 1-line block ×6, first 2 shown]
	v_fma_f64 v[20:21], v[94:95], s[4:5], v[38:39]
	v_fma_f64 v[22:23], v[131:132], s[4:5], v[92:93]
	v_add_f64 v[16:17], v[64:65], v[26:27]
	v_fma_f64 v[28:29], v[100:101], s[4:5], v[88:89]
	v_fma_f64 v[30:31], v[106:107], s[4:5], v[98:99]
	;; [unrolled: 1-line block ×38, first 2 shown]
	ds_store_b128 v126, v[0:3]
	ds_store_b128 v126, v[4:7] offset:896
	ds_store_b128 v126, v[8:11] offset:1792
	;; [unrolled: 1-line block ×24, first 2 shown]
	s_waitcnt lgkmcnt(0)
	s_barrier
	buffer_gl0_inv
	s_and_saveexec_b32 s0, vcc_lo
	s_cbranch_execz .LBB0_37
; %bb.36:
	v_mul_lo_u32 v2, s3, v124
	v_mul_lo_u32 v3, s2, v125
	v_mad_u64_u32 v[0:1], null, s2, v124, 0
	v_dual_mov_b32 v121, 0 :: v_dual_add_nc_u32 v10, 56, v120
	v_lshlrev_b64 v[8:9], 4, v[122:123]
	v_lshl_add_u32 v28, v120, 4, 0
	s_delay_alu instid0(VALU_DEP_3) | instskip(SKIP_4) | instid1(VALU_DEP_4)
	v_dual_mov_b32 v11, v121 :: v_dual_add_nc_u32 v12, 0x70, v120
	v_add3_u32 v1, v1, v3, v2
	v_lshlrev_b64 v[14:15], 4, v[120:121]
	v_dual_mov_b32 v13, v121 :: v_dual_add_nc_u32 v22, 0xa8, v120
	v_dual_mov_b32 v23, v121 :: v_dual_add_nc_u32 v24, 0xe0, v120
	v_lshlrev_b64 v[16:17], 4, v[0:1]
	ds_load_b128 v[0:3], v28
	ds_load_b128 v[4:7], v28 offset:896
	v_mov_b32_e32 v25, v121
	v_lshlrev_b64 v[22:23], 4, v[22:23]
	v_add_co_u32 v18, vcc_lo, s6, v16
	v_add_co_ci_u32_e32 v19, vcc_lo, s7, v17, vcc_lo
	v_lshlrev_b64 v[16:17], 4, v[10:11]
	s_delay_alu instid0(VALU_DEP_3) | instskip(NEXT) | instid1(VALU_DEP_3)
	v_add_co_u32 v30, vcc_lo, v18, v8
	v_add_co_ci_u32_e32 v31, vcc_lo, v19, v9, vcc_lo
	v_lshlrev_b64 v[18:19], 4, v[12:13]
	s_delay_alu instid0(VALU_DEP_3) | instskip(NEXT) | instid1(VALU_DEP_3)
	v_add_co_u32 v20, vcc_lo, v30, v14
	v_add_co_ci_u32_e32 v21, vcc_lo, v31, v15, vcc_lo
	ds_load_b128 v[8:11], v28 offset:1792
	ds_load_b128 v[12:15], v28 offset:2688
	v_add_co_u32 v16, vcc_lo, v30, v16
	v_add_co_ci_u32_e32 v17, vcc_lo, v31, v17, vcc_lo
	v_add_co_u32 v18, vcc_lo, v30, v18
	v_add_co_ci_u32_e32 v19, vcc_lo, v31, v19, vcc_lo
	;; [unrolled: 2-line block ×3, first 2 shown]
	s_waitcnt lgkmcnt(3)
	global_store_b128 v[20:21], v[0:3], off
	s_waitcnt lgkmcnt(2)
	global_store_b128 v[16:17], v[4:7], off
	;; [unrolled: 2-line block ×4, first 2 shown]
	v_add_nc_u32_e32 v8, 0x118, v120
	v_lshlrev_b64 v[0:1], 4, v[24:25]
	v_dual_mov_b32 v9, v121 :: v_dual_add_nc_u32 v10, 0x150, v120
	v_dual_mov_b32 v11, v121 :: v_dual_add_nc_u32 v22, 0x188, v120
	;; [unrolled: 1-line block ×3, first 2 shown]
	s_delay_alu instid0(VALU_DEP_4)
	v_add_co_u32 v16, vcc_lo, v30, v0
	v_add_co_ci_u32_e32 v17, vcc_lo, v31, v1, vcc_lo
	ds_load_b128 v[0:3], v28 offset:3584
	ds_load_b128 v[4:7], v28 offset:4480
	v_lshlrev_b64 v[18:19], 4, v[8:9]
	v_lshlrev_b64 v[20:21], 4, v[10:11]
	ds_load_b128 v[8:11], v28 offset:5376
	ds_load_b128 v[12:15], v28 offset:6272
	v_lshlrev_b64 v[22:23], 4, v[22:23]
	v_add_co_u32 v18, vcc_lo, v30, v18
	v_add_co_ci_u32_e32 v19, vcc_lo, v31, v19, vcc_lo
	v_add_co_u32 v20, vcc_lo, v30, v20
	v_add_co_ci_u32_e32 v21, vcc_lo, v31, v21, vcc_lo
	;; [unrolled: 2-line block ×3, first 2 shown]
	s_waitcnt lgkmcnt(3)
	global_store_b128 v[16:17], v[0:3], off
	s_waitcnt lgkmcnt(2)
	global_store_b128 v[18:19], v[4:7], off
	;; [unrolled: 2-line block ×4, first 2 shown]
	v_lshlrev_b64 v[0:1], 4, v[24:25]
	v_dual_mov_b32 v9, v121 :: v_dual_add_nc_u32 v8, 0x1f8, v120
	v_dual_mov_b32 v11, v121 :: v_dual_add_nc_u32 v10, 0x230, v120
	;; [unrolled: 1-line block ×3, first 2 shown]
	s_delay_alu instid0(VALU_DEP_4)
	v_add_co_u32 v16, vcc_lo, v30, v0
	v_add_co_ci_u32_e32 v17, vcc_lo, v31, v1, vcc_lo
	ds_load_b128 v[0:3], v28 offset:7168
	ds_load_b128 v[4:7], v28 offset:8064
	v_lshlrev_b64 v[18:19], 4, v[8:9]
	v_lshlrev_b64 v[20:21], 4, v[10:11]
	ds_load_b128 v[8:11], v28 offset:8960
	ds_load_b128 v[12:15], v28 offset:9856
	v_lshlrev_b64 v[22:23], 4, v[22:23]
	v_add_nc_u32_e32 v24, 0x2a0, v120
	v_add_co_u32 v18, vcc_lo, v30, v18
	v_add_co_ci_u32_e32 v19, vcc_lo, v31, v19, vcc_lo
	v_add_co_u32 v20, vcc_lo, v30, v20
	v_add_co_ci_u32_e32 v21, vcc_lo, v31, v21, vcc_lo
	;; [unrolled: 2-line block ×3, first 2 shown]
	s_waitcnt lgkmcnt(3)
	global_store_b128 v[16:17], v[0:3], off
	s_waitcnt lgkmcnt(2)
	global_store_b128 v[18:19], v[4:7], off
	;; [unrolled: 2-line block ×4, first 2 shown]
	v_mov_b32_e32 v9, v121
	v_lshlrev_b64 v[0:1], 4, v[24:25]
	v_dual_mov_b32 v11, v121 :: v_dual_add_nc_u32 v8, 0x2d8, v120
	v_dual_mov_b32 v23, v121 :: v_dual_add_nc_u32 v10, 0x310, v120
	v_add_nc_u32_e32 v22, 0x348, v120
	s_delay_alu instid0(VALU_DEP_4)
	v_add_co_u32 v16, vcc_lo, v30, v0
	v_add_co_ci_u32_e32 v17, vcc_lo, v31, v1, vcc_lo
	ds_load_b128 v[0:3], v28 offset:10752
	ds_load_b128 v[4:7], v28 offset:11648
	v_lshlrev_b64 v[18:19], 4, v[8:9]
	v_lshlrev_b64 v[20:21], 4, v[10:11]
	ds_load_b128 v[8:11], v28 offset:12544
	ds_load_b128 v[12:15], v28 offset:13440
	v_lshlrev_b64 v[22:23], 4, v[22:23]
	v_add_nc_u32_e32 v24, 0x380, v120
	v_add_co_u32 v18, vcc_lo, v30, v18
	v_add_co_ci_u32_e32 v19, vcc_lo, v31, v19, vcc_lo
	v_add_co_u32 v20, vcc_lo, v30, v20
	v_add_co_ci_u32_e32 v21, vcc_lo, v31, v21, vcc_lo
	;; [unrolled: 2-line block ×3, first 2 shown]
	s_waitcnt lgkmcnt(3)
	global_store_b128 v[16:17], v[0:3], off
	s_waitcnt lgkmcnt(2)
	global_store_b128 v[18:19], v[4:7], off
	;; [unrolled: 2-line block ×4, first 2 shown]
	v_mov_b32_e32 v11, v121
	v_lshlrev_b64 v[0:1], 4, v[24:25]
	v_dual_mov_b32 v23, v121 :: v_dual_add_nc_u32 v8, 0x3b8, v120
	v_dual_mov_b32 v9, v121 :: v_dual_add_nc_u32 v10, 0x3f0, v120
	v_add_nc_u32_e32 v22, 0x428, v120
	s_delay_alu instid0(VALU_DEP_4)
	v_add_co_u32 v16, vcc_lo, v30, v0
	v_add_co_ci_u32_e32 v17, vcc_lo, v31, v1, vcc_lo
	ds_load_b128 v[0:3], v28 offset:14336
	ds_load_b128 v[4:7], v28 offset:15232
	v_lshlrev_b64 v[18:19], 4, v[8:9]
	v_lshlrev_b64 v[20:21], 4, v[10:11]
	ds_load_b128 v[8:11], v28 offset:16128
	ds_load_b128 v[12:15], v28 offset:17024
	v_lshlrev_b64 v[22:23], 4, v[22:23]
	v_add_nc_u32_e32 v24, 0x460, v120
	v_add_co_u32 v18, vcc_lo, v30, v18
	v_add_co_ci_u32_e32 v19, vcc_lo, v31, v19, vcc_lo
	v_add_co_u32 v20, vcc_lo, v30, v20
	v_add_co_ci_u32_e32 v21, vcc_lo, v31, v21, vcc_lo
	v_add_co_u32 v22, vcc_lo, v30, v22
	s_waitcnt lgkmcnt(3)
	global_store_b128 v[16:17], v[0:3], off
	s_waitcnt lgkmcnt(2)
	global_store_b128 v[18:19], v[4:7], off
	v_dual_mov_b32 v3, v121 :: v_dual_add_nc_u32 v2, 0x498, v120
	v_add_co_ci_u32_e32 v23, vcc_lo, v31, v23, vcc_lo
	v_lshlrev_b64 v[0:1], 4, v[24:25]
	s_waitcnt lgkmcnt(1)
	global_store_b128 v[20:21], v[8:11], off
	s_waitcnt lgkmcnt(0)
	global_store_b128 v[22:23], v[12:15], off
	v_mov_b32_e32 v11, v121
	v_lshlrev_b64 v[8:9], 4, v[2:3]
	v_add_nc_u32_e32 v10, 0x4d0, v120
	v_add_co_u32 v20, vcc_lo, v30, v0
	v_add_co_ci_u32_e32 v21, vcc_lo, v31, v1, vcc_lo
	s_delay_alu instid0(VALU_DEP_4)
	v_add_co_u32 v22, vcc_lo, v30, v8
	ds_load_b128 v[0:3], v28 offset:17920
	ds_load_b128 v[4:7], v28 offset:18816
	v_add_co_ci_u32_e32 v23, vcc_lo, v31, v9, vcc_lo
	v_lshlrev_b64 v[26:27], 4, v[10:11]
	ds_load_b128 v[8:11], v28 offset:19712
	ds_load_b128 v[12:15], v28 offset:20608
	ds_load_b128 v[16:19], v28 offset:21504
	v_add_nc_u32_e32 v24, 0x508, v120
	v_add_nc_u32_e32 v120, 0x540, v120
	v_add_co_u32 v26, vcc_lo, v30, v26
	s_delay_alu instid0(VALU_DEP_3) | instskip(NEXT) | instid1(VALU_DEP_3)
	v_lshlrev_b64 v[24:25], 4, v[24:25]
	v_lshlrev_b64 v[28:29], 4, v[120:121]
	v_add_co_ci_u32_e32 v27, vcc_lo, v31, v27, vcc_lo
	s_delay_alu instid0(VALU_DEP_3) | instskip(NEXT) | instid1(VALU_DEP_4)
	v_add_co_u32 v24, vcc_lo, v30, v24
	v_add_co_ci_u32_e32 v25, vcc_lo, v31, v25, vcc_lo
	s_delay_alu instid0(VALU_DEP_4)
	v_add_co_u32 v28, vcc_lo, v30, v28
	v_add_co_ci_u32_e32 v29, vcc_lo, v31, v29, vcc_lo
	s_waitcnt lgkmcnt(4)
	global_store_b128 v[20:21], v[0:3], off
	s_waitcnt lgkmcnt(3)
	global_store_b128 v[22:23], v[4:7], off
	;; [unrolled: 2-line block ×5, first 2 shown]
.LBB0_37:
	s_nop 0
	s_sendmsg sendmsg(MSG_DEALLOC_VGPRS)
	s_endpgm
	.section	.rodata,"a",@progbits
	.p2align	6, 0x0
	.amdhsa_kernel fft_rtc_back_len1400_factors_2_2_2_5_7_5_wgs_56_tpt_56_halfLds_dp_op_CI_CI_unitstride_sbrr_C2R_dirReg
		.amdhsa_group_segment_fixed_size 0
		.amdhsa_private_segment_fixed_size 0
		.amdhsa_kernarg_size 104
		.amdhsa_user_sgpr_count 15
		.amdhsa_user_sgpr_dispatch_ptr 0
		.amdhsa_user_sgpr_queue_ptr 0
		.amdhsa_user_sgpr_kernarg_segment_ptr 1
		.amdhsa_user_sgpr_dispatch_id 0
		.amdhsa_user_sgpr_private_segment_size 0
		.amdhsa_wavefront_size32 1
		.amdhsa_uses_dynamic_stack 0
		.amdhsa_enable_private_segment 0
		.amdhsa_system_sgpr_workgroup_id_x 1
		.amdhsa_system_sgpr_workgroup_id_y 0
		.amdhsa_system_sgpr_workgroup_id_z 0
		.amdhsa_system_sgpr_workgroup_info 0
		.amdhsa_system_vgpr_workitem_id 0
		.amdhsa_next_free_vgpr 255
		.amdhsa_next_free_sgpr 28
		.amdhsa_reserve_vcc 1
		.amdhsa_float_round_mode_32 0
		.amdhsa_float_round_mode_16_64 0
		.amdhsa_float_denorm_mode_32 3
		.amdhsa_float_denorm_mode_16_64 3
		.amdhsa_dx10_clamp 1
		.amdhsa_ieee_mode 1
		.amdhsa_fp16_overflow 0
		.amdhsa_workgroup_processor_mode 1
		.amdhsa_memory_ordered 1
		.amdhsa_forward_progress 0
		.amdhsa_shared_vgpr_count 0
		.amdhsa_exception_fp_ieee_invalid_op 0
		.amdhsa_exception_fp_denorm_src 0
		.amdhsa_exception_fp_ieee_div_zero 0
		.amdhsa_exception_fp_ieee_overflow 0
		.amdhsa_exception_fp_ieee_underflow 0
		.amdhsa_exception_fp_ieee_inexact 0
		.amdhsa_exception_int_div_zero 0
	.end_amdhsa_kernel
	.text
.Lfunc_end0:
	.size	fft_rtc_back_len1400_factors_2_2_2_5_7_5_wgs_56_tpt_56_halfLds_dp_op_CI_CI_unitstride_sbrr_C2R_dirReg, .Lfunc_end0-fft_rtc_back_len1400_factors_2_2_2_5_7_5_wgs_56_tpt_56_halfLds_dp_op_CI_CI_unitstride_sbrr_C2R_dirReg
                                        ; -- End function
	.section	.AMDGPU.csdata,"",@progbits
; Kernel info:
; codeLenInByte = 22480
; NumSgprs: 30
; NumVgprs: 255
; ScratchSize: 0
; MemoryBound: 0
; FloatMode: 240
; IeeeMode: 1
; LDSByteSize: 0 bytes/workgroup (compile time only)
; SGPRBlocks: 3
; VGPRBlocks: 31
; NumSGPRsForWavesPerEU: 30
; NumVGPRsForWavesPerEU: 255
; Occupancy: 5
; WaveLimiterHint : 1
; COMPUTE_PGM_RSRC2:SCRATCH_EN: 0
; COMPUTE_PGM_RSRC2:USER_SGPR: 15
; COMPUTE_PGM_RSRC2:TRAP_HANDLER: 0
; COMPUTE_PGM_RSRC2:TGID_X_EN: 1
; COMPUTE_PGM_RSRC2:TGID_Y_EN: 0
; COMPUTE_PGM_RSRC2:TGID_Z_EN: 0
; COMPUTE_PGM_RSRC2:TIDIG_COMP_CNT: 0
	.text
	.p2alignl 7, 3214868480
	.fill 96, 4, 3214868480
	.type	__hip_cuid_89ce545eeb647c0c,@object ; @__hip_cuid_89ce545eeb647c0c
	.section	.bss,"aw",@nobits
	.globl	__hip_cuid_89ce545eeb647c0c
__hip_cuid_89ce545eeb647c0c:
	.byte	0                               ; 0x0
	.size	__hip_cuid_89ce545eeb647c0c, 1

	.ident	"AMD clang version 19.0.0git (https://github.com/RadeonOpenCompute/llvm-project roc-6.4.0 25133 c7fe45cf4b819c5991fe208aaa96edf142730f1d)"
	.section	".note.GNU-stack","",@progbits
	.addrsig
	.addrsig_sym __hip_cuid_89ce545eeb647c0c
	.amdgpu_metadata
---
amdhsa.kernels:
  - .args:
      - .actual_access:  read_only
        .address_space:  global
        .offset:         0
        .size:           8
        .value_kind:     global_buffer
      - .offset:         8
        .size:           8
        .value_kind:     by_value
      - .actual_access:  read_only
        .address_space:  global
        .offset:         16
        .size:           8
        .value_kind:     global_buffer
      - .actual_access:  read_only
        .address_space:  global
        .offset:         24
        .size:           8
        .value_kind:     global_buffer
      - .actual_access:  read_only
        .address_space:  global
        .offset:         32
        .size:           8
        .value_kind:     global_buffer
      - .offset:         40
        .size:           8
        .value_kind:     by_value
      - .actual_access:  read_only
        .address_space:  global
        .offset:         48
        .size:           8
        .value_kind:     global_buffer
      - .actual_access:  read_only
        .address_space:  global
        .offset:         56
        .size:           8
        .value_kind:     global_buffer
      - .offset:         64
        .size:           4
        .value_kind:     by_value
      - .actual_access:  read_only
        .address_space:  global
        .offset:         72
        .size:           8
        .value_kind:     global_buffer
      - .actual_access:  read_only
        .address_space:  global
        .offset:         80
        .size:           8
        .value_kind:     global_buffer
      - .actual_access:  read_only
        .address_space:  global
        .offset:         88
        .size:           8
        .value_kind:     global_buffer
      - .actual_access:  write_only
        .address_space:  global
        .offset:         96
        .size:           8
        .value_kind:     global_buffer
    .group_segment_fixed_size: 0
    .kernarg_segment_align: 8
    .kernarg_segment_size: 104
    .language:       OpenCL C
    .language_version:
      - 2
      - 0
    .max_flat_workgroup_size: 56
    .name:           fft_rtc_back_len1400_factors_2_2_2_5_7_5_wgs_56_tpt_56_halfLds_dp_op_CI_CI_unitstride_sbrr_C2R_dirReg
    .private_segment_fixed_size: 0
    .sgpr_count:     30
    .sgpr_spill_count: 0
    .symbol:         fft_rtc_back_len1400_factors_2_2_2_5_7_5_wgs_56_tpt_56_halfLds_dp_op_CI_CI_unitstride_sbrr_C2R_dirReg.kd
    .uniform_work_group_size: 1
    .uses_dynamic_stack: false
    .vgpr_count:     255
    .vgpr_spill_count: 0
    .wavefront_size: 32
    .workgroup_processor_mode: 1
amdhsa.target:   amdgcn-amd-amdhsa--gfx1100
amdhsa.version:
  - 1
  - 2
...

	.end_amdgpu_metadata
